;; amdgpu-corpus repo=ROCm/rocFFT kind=compiled arch=gfx950 opt=O3
	.text
	.amdgcn_target "amdgcn-amd-amdhsa--gfx950"
	.amdhsa_code_object_version 6
	.protected	fft_rtc_fwd_len1248_factors_2_2_13_2_3_2_2_wgs_52_tpt_52_halfLds_sp_op_CI_CI_unitstride_sbrr_C2R_dirReg ; -- Begin function fft_rtc_fwd_len1248_factors_2_2_13_2_3_2_2_wgs_52_tpt_52_halfLds_sp_op_CI_CI_unitstride_sbrr_C2R_dirReg
	.globl	fft_rtc_fwd_len1248_factors_2_2_13_2_3_2_2_wgs_52_tpt_52_halfLds_sp_op_CI_CI_unitstride_sbrr_C2R_dirReg
	.p2align	8
	.type	fft_rtc_fwd_len1248_factors_2_2_13_2_3_2_2_wgs_52_tpt_52_halfLds_sp_op_CI_CI_unitstride_sbrr_C2R_dirReg,@function
fft_rtc_fwd_len1248_factors_2_2_13_2_3_2_2_wgs_52_tpt_52_halfLds_sp_op_CI_CI_unitstride_sbrr_C2R_dirReg: ; @fft_rtc_fwd_len1248_factors_2_2_13_2_3_2_2_wgs_52_tpt_52_halfLds_sp_op_CI_CI_unitstride_sbrr_C2R_dirReg
; %bb.0:
	s_load_dwordx4 s[4:7], s[0:1], 0x58
	s_load_dwordx4 s[8:11], s[0:1], 0x0
	;; [unrolled: 1-line block ×3, first 2 shown]
	v_mul_u32_u24_e32 v1, 0x4ed, v0
	v_add_u32_sdwa v6, s2, v1 dst_sel:DWORD dst_unused:UNUSED_PAD src0_sel:DWORD src1_sel:WORD_1
	v_mov_b32_e32 v4, 0
	s_waitcnt lgkmcnt(0)
	v_cmp_lt_u64_e64 s[2:3], s[10:11], 2
	v_mov_b32_e32 v7, v4
	s_and_b64 vcc, exec, s[2:3]
	v_mov_b64_e32 v[2:3], 0
	s_cbranch_vccnz .LBB0_8
; %bb.1:
	s_load_dwordx2 s[2:3], s[0:1], 0x10
	s_add_u32 s16, s14, 8
	s_addc_u32 s17, s15, 0
	s_add_u32 s18, s12, 8
	s_addc_u32 s19, s13, 0
	s_waitcnt lgkmcnt(0)
	s_add_u32 s20, s2, 8
	v_mov_b64_e32 v[2:3], 0
	s_addc_u32 s21, s3, 0
	s_mov_b64 s[22:23], 1
	v_mov_b64_e32 v[72:73], v[2:3]
.LBB0_2:                                ; =>This Inner Loop Header: Depth=1
	s_load_dwordx2 s[24:25], s[20:21], 0x0
                                        ; implicit-def: $vgpr76_vgpr77
	s_waitcnt lgkmcnt(0)
	v_or_b32_e32 v5, s25, v7
	v_cmp_ne_u64_e32 vcc, 0, v[4:5]
	s_and_saveexec_b64 s[2:3], vcc
	s_xor_b64 s[26:27], exec, s[2:3]
	s_cbranch_execz .LBB0_4
; %bb.3:                                ;   in Loop: Header=BB0_2 Depth=1
	v_cvt_f32_u32_e32 v1, s24
	v_cvt_f32_u32_e32 v5, s25
	s_sub_u32 s2, 0, s24
	s_subb_u32 s3, 0, s25
	v_fmac_f32_e32 v1, 0x4f800000, v5
	v_rcp_f32_e32 v1, v1
	s_nop 0
	v_mul_f32_e32 v1, 0x5f7ffffc, v1
	v_mul_f32_e32 v5, 0x2f800000, v1
	v_trunc_f32_e32 v5, v5
	v_fmac_f32_e32 v1, 0xcf800000, v5
	v_cvt_u32_f32_e32 v5, v5
	v_cvt_u32_f32_e32 v1, v1
	v_mul_lo_u32 v8, s2, v5
	v_mul_hi_u32 v10, s2, v1
	v_mul_lo_u32 v9, s3, v1
	v_add_u32_e32 v10, v10, v8
	v_mul_lo_u32 v12, s2, v1
	v_add_u32_e32 v13, v10, v9
	v_mul_hi_u32 v8, v1, v12
	v_mul_hi_u32 v11, v1, v13
	v_mul_lo_u32 v10, v1, v13
	v_mov_b32_e32 v9, v4
	v_lshl_add_u64 v[8:9], v[8:9], 0, v[10:11]
	v_mul_hi_u32 v11, v5, v12
	v_mul_lo_u32 v12, v5, v12
	v_add_co_u32_e32 v8, vcc, v8, v12
	v_mul_hi_u32 v10, v5, v13
	s_nop 0
	v_addc_co_u32_e32 v8, vcc, v9, v11, vcc
	v_mov_b32_e32 v9, v4
	s_nop 0
	v_addc_co_u32_e32 v11, vcc, 0, v10, vcc
	v_mul_lo_u32 v10, v5, v13
	v_lshl_add_u64 v[8:9], v[8:9], 0, v[10:11]
	v_add_co_u32_e32 v1, vcc, v1, v8
	v_mul_lo_u32 v10, s2, v1
	s_nop 0
	v_addc_co_u32_e32 v5, vcc, v5, v9, vcc
	v_mul_lo_u32 v8, s2, v5
	v_mul_hi_u32 v9, s2, v1
	v_add_u32_e32 v8, v9, v8
	v_mul_lo_u32 v9, s3, v1
	v_add_u32_e32 v12, v8, v9
	v_mul_hi_u32 v14, v5, v10
	v_mul_lo_u32 v15, v5, v10
	v_mul_hi_u32 v9, v1, v12
	v_mul_lo_u32 v8, v1, v12
	v_mul_hi_u32 v10, v1, v10
	v_mov_b32_e32 v11, v4
	v_lshl_add_u64 v[8:9], v[10:11], 0, v[8:9]
	v_add_co_u32_e32 v8, vcc, v8, v15
	v_mul_hi_u32 v13, v5, v12
	s_nop 0
	v_addc_co_u32_e32 v8, vcc, v9, v14, vcc
	v_mul_lo_u32 v10, v5, v12
	s_nop 0
	v_addc_co_u32_e32 v11, vcc, 0, v13, vcc
	v_mov_b32_e32 v9, v4
	v_lshl_add_u64 v[8:9], v[8:9], 0, v[10:11]
	v_add_co_u32_e32 v1, vcc, v1, v8
	v_mul_hi_u32 v10, v6, v1
	s_nop 0
	v_addc_co_u32_e32 v5, vcc, v5, v9, vcc
	v_mad_u64_u32 v[8:9], s[2:3], v6, v5, 0
	v_mov_b32_e32 v11, v4
	v_lshl_add_u64 v[8:9], v[10:11], 0, v[8:9]
	v_mad_u64_u32 v[12:13], s[2:3], v7, v1, 0
	v_add_co_u32_e32 v1, vcc, v8, v12
	v_mad_u64_u32 v[10:11], s[2:3], v7, v5, 0
	s_nop 0
	v_addc_co_u32_e32 v8, vcc, v9, v13, vcc
	v_mov_b32_e32 v9, v4
	s_nop 0
	v_addc_co_u32_e32 v11, vcc, 0, v11, vcc
	v_lshl_add_u64 v[8:9], v[8:9], 0, v[10:11]
	v_mul_lo_u32 v1, s25, v8
	v_mul_lo_u32 v5, s24, v9
	v_mad_u64_u32 v[10:11], s[2:3], s24, v8, 0
	v_add3_u32 v1, v11, v5, v1
	v_sub_u32_e32 v5, v7, v1
	v_mov_b32_e32 v11, s25
	v_sub_co_u32_e32 v14, vcc, v6, v10
	v_lshl_add_u64 v[12:13], v[8:9], 0, 1
	s_nop 0
	v_subb_co_u32_e64 v5, s[2:3], v5, v11, vcc
	v_subrev_co_u32_e64 v10, s[2:3], s24, v14
	v_subb_co_u32_e32 v1, vcc, v7, v1, vcc
	s_nop 0
	v_subbrev_co_u32_e64 v5, s[2:3], 0, v5, s[2:3]
	v_cmp_le_u32_e64 s[2:3], s25, v5
	v_cmp_le_u32_e32 vcc, s25, v1
	s_nop 0
	v_cndmask_b32_e64 v11, 0, -1, s[2:3]
	v_cmp_le_u32_e64 s[2:3], s24, v10
	s_nop 1
	v_cndmask_b32_e64 v10, 0, -1, s[2:3]
	v_cmp_eq_u32_e64 s[2:3], s25, v5
	s_nop 1
	v_cndmask_b32_e64 v5, v11, v10, s[2:3]
	v_lshl_add_u64 v[10:11], v[8:9], 0, 2
	v_cmp_ne_u32_e64 s[2:3], 0, v5
	s_nop 1
	v_cndmask_b32_e64 v5, v13, v11, s[2:3]
	v_cndmask_b32_e64 v11, 0, -1, vcc
	v_cmp_le_u32_e32 vcc, s24, v14
	s_nop 1
	v_cndmask_b32_e64 v13, 0, -1, vcc
	v_cmp_eq_u32_e32 vcc, s25, v1
	s_nop 1
	v_cndmask_b32_e32 v1, v11, v13, vcc
	v_cmp_ne_u32_e32 vcc, 0, v1
	v_cndmask_b32_e64 v1, v12, v10, s[2:3]
	s_nop 0
	v_cndmask_b32_e32 v77, v9, v5, vcc
	v_cndmask_b32_e32 v76, v8, v1, vcc
.LBB0_4:                                ;   in Loop: Header=BB0_2 Depth=1
	s_andn2_saveexec_b64 s[2:3], s[26:27]
	s_cbranch_execz .LBB0_6
; %bb.5:                                ;   in Loop: Header=BB0_2 Depth=1
	v_cvt_f32_u32_e32 v1, s24
	s_sub_i32 s26, 0, s24
	v_mov_b32_e32 v77, v4
	v_rcp_iflag_f32_e32 v1, v1
	s_nop 0
	v_mul_f32_e32 v1, 0x4f7ffffe, v1
	v_cvt_u32_f32_e32 v1, v1
	v_mul_lo_u32 v5, s26, v1
	v_mul_hi_u32 v5, v1, v5
	v_add_u32_e32 v1, v1, v5
	v_mul_hi_u32 v1, v6, v1
	v_mul_lo_u32 v5, v1, s24
	v_sub_u32_e32 v5, v6, v5
	v_add_u32_e32 v8, 1, v1
	v_subrev_u32_e32 v9, s24, v5
	v_cmp_le_u32_e32 vcc, s24, v5
	s_nop 1
	v_cndmask_b32_e32 v5, v5, v9, vcc
	v_cndmask_b32_e32 v1, v1, v8, vcc
	v_add_u32_e32 v8, 1, v1
	v_cmp_le_u32_e32 vcc, s24, v5
	s_nop 1
	v_cndmask_b32_e32 v76, v1, v8, vcc
.LBB0_6:                                ;   in Loop: Header=BB0_2 Depth=1
	s_or_b64 exec, exec, s[2:3]
	v_mad_u64_u32 v[8:9], s[2:3], v76, s24, 0
	s_load_dwordx2 s[2:3], s[18:19], 0x0
	v_mul_lo_u32 v1, v77, s24
	v_mul_lo_u32 v5, v76, s25
	s_load_dwordx2 s[24:25], s[16:17], 0x0
	s_add_u32 s22, s22, 1
	v_add3_u32 v1, v9, v5, v1
	v_sub_co_u32_e32 v5, vcc, v6, v8
	s_addc_u32 s23, s23, 0
	s_nop 0
	v_subb_co_u32_e32 v1, vcc, v7, v1, vcc
	s_add_u32 s16, s16, 8
	s_waitcnt lgkmcnt(0)
	v_mul_lo_u32 v6, s2, v1
	v_mul_lo_u32 v7, s3, v5
	v_mad_u64_u32 v[2:3], s[2:3], s2, v5, v[2:3]
	s_addc_u32 s17, s17, 0
	v_add3_u32 v3, v7, v3, v6
	v_mul_lo_u32 v1, s24, v1
	v_mul_lo_u32 v6, s25, v5
	v_mad_u64_u32 v[72:73], s[2:3], s24, v5, v[72:73]
	s_add_u32 s18, s18, 8
	v_add3_u32 v73, v6, v73, v1
	s_addc_u32 s19, s19, 0
	v_mov_b64_e32 v[6:7], s[10:11]
	s_add_u32 s20, s20, 8
	v_cmp_ge_u64_e32 vcc, s[22:23], v[6:7]
	s_addc_u32 s21, s21, 0
	s_cbranch_vccnz .LBB0_9
; %bb.7:                                ;   in Loop: Header=BB0_2 Depth=1
	v_mov_b64_e32 v[6:7], v[76:77]
	s_branch .LBB0_2
.LBB0_8:
	v_mov_b64_e32 v[72:73], v[2:3]
	v_mov_b64_e32 v[76:77], v[6:7]
.LBB0_9:
	s_load_dwordx2 s[18:19], s[0:1], 0x28
	s_lshl_b64 s[16:17], s[10:11], 3
	s_add_u32 s2, s14, s16
	s_addc_u32 s3, s15, s17
                                        ; implicit-def: $vgpr74
                                        ; implicit-def: $vgpr80_vgpr81
	s_waitcnt lgkmcnt(0)
	v_cmp_gt_u64_e64 s[0:1], s[18:19], v[76:77]
	v_cmp_le_u64_e32 vcc, s[18:19], v[76:77]
	s_and_saveexec_b64 s[10:11], vcc
	s_xor_b64 s[10:11], exec, s[10:11]
; %bb.10:
	s_mov_b32 s14, 0x4ec4ec5
	v_mul_hi_u32 v1, v0, s14
	v_mul_u32_u24_e32 v1, 52, v1
	v_sub_u32_e32 v74, v0, v1
	v_mov_b32_e32 v75, 0
	v_mov_b64_e32 v[80:81], v[74:75]
                                        ; implicit-def: $vgpr0
                                        ; implicit-def: $vgpr2_vgpr3
; %bb.11:
	s_or_saveexec_b64 s[10:11], s[10:11]
	s_load_dwordx2 s[2:3], s[2:3], 0x0
	s_xor_b64 exec, exec, s[10:11]
	s_cbranch_execz .LBB0_15
; %bb.12:
	s_add_u32 s12, s12, s16
	s_addc_u32 s13, s13, s17
	s_load_dwordx2 s[12:13], s[12:13], 0x0
	s_mov_b32 s14, 0x4ec4ec5
	v_mov_b32_e32 v75, 0
	v_mov_b32_e32 v41, v75
	s_waitcnt lgkmcnt(0)
	v_mul_lo_u32 v1, s13, v76
	v_mul_lo_u32 v6, s12, v77
	v_mad_u64_u32 v[4:5], s[12:13], s12, v76, 0
	v_add3_u32 v5, v5, v6, v1
	v_mul_hi_u32 v1, v0, s14
	v_mul_u32_u24_e32 v1, 52, v1
	v_sub_u32_e32 v74, v0, v1
	v_lshl_add_u64 v[0:1], v[4:5], 3, s[4:5]
	v_lshl_add_u64 v[0:1], v[2:3], 3, v[0:1]
	v_lshlrev_b32_e32 v2, 3, v74
	v_mov_b32_e32 v3, v75
	v_lshl_add_u64 v[4:5], v[0:1], 0, v[2:3]
	s_movk_i32 s4, 0x1000
	v_add_co_u32_e32 v22, vcc, s4, v4
	global_load_dwordx2 v[6:7], v[4:5], off
	global_load_dwordx2 v[8:9], v[4:5], off offset:416
	global_load_dwordx2 v[10:11], v[4:5], off offset:832
	;; [unrolled: 1-line block ×7, first 2 shown]
	v_addc_co_u32_e32 v23, vcc, 0, v5, vcc
	global_load_dwordx2 v[24:25], v[4:5], off offset:3328
	global_load_dwordx2 v[26:27], v[4:5], off offset:3744
	global_load_dwordx2 v[28:29], v[22:23], off offset:64
	global_load_dwordx2 v[30:31], v[22:23], off offset:480
	global_load_dwordx2 v[32:33], v[22:23], off offset:896
	global_load_dwordx2 v[34:35], v[22:23], off offset:1312
	global_load_dwordx2 v[36:37], v[22:23], off offset:1728
	global_load_dwordx2 v[38:39], v[22:23], off offset:2144
	v_or_b32_e32 v40, 0x1a00, v2
	v_add_co_u32_e32 v4, vcc, 0x2000, v4
	v_lshl_add_u64 v[40:41], v[0:1], 0, v[40:41]
	s_nop 0
	v_addc_co_u32_e32 v5, vcc, 0, v5, vcc
	global_load_dwordx2 v[42:43], v[22:23], off offset:2976
	global_load_dwordx2 v[44:45], v[22:23], off offset:3392
	global_load_dwordx2 v[46:47], v[40:41], off
	global_load_dwordx2 v[48:49], v[22:23], off offset:3808
	s_nop 0
	global_load_dwordx2 v[22:23], v[4:5], off offset:128
	global_load_dwordx2 v[40:41], v[4:5], off offset:544
	;; [unrolled: 1-line block ×4, first 2 shown]
	v_cmp_eq_u32_e32 vcc, 51, v74
	v_add_u32_e32 v2, 0, v2
	v_mov_b64_e32 v[80:81], v[74:75]
	v_add_u32_e32 v3, 0x400, v2
	v_add_u32_e32 v4, 0x800, v2
	v_add_u32_e32 v5, 0x1000, v2
	v_add_u32_e32 v54, 0x1400, v2
	v_add_u32_e32 v55, 0x1800, v2
	v_add_u32_e32 v56, 0x2000, v2
	s_waitcnt vmcnt(22)
	ds_write2_b64 v2, v[6:7], v[8:9] offset1:52
	s_waitcnt vmcnt(20)
	ds_write2_b64 v2, v[10:11], v[12:13] offset0:104 offset1:156
	s_waitcnt vmcnt(18)
	ds_write2_b64 v3, v[14:15], v[16:17] offset0:80 offset1:132
	s_waitcnt vmcnt(16)
	ds_write2_b64 v4, v[18:19], v[20:21] offset0:56 offset1:108
	s_waitcnt vmcnt(14)
	ds_write2_b64 v4, v[24:25], v[26:27] offset0:160 offset1:212
	s_waitcnt vmcnt(12)
	ds_write2_b64 v5, v[28:29], v[30:31] offset0:8 offset1:60
	s_waitcnt vmcnt(10)
	ds_write2_b64 v5, v[32:33], v[34:35] offset0:112 offset1:164
	s_waitcnt vmcnt(8)
	ds_write2_b64 v54, v[36:37], v[38:39] offset0:88 offset1:140
	s_waitcnt vmcnt(5)
	ds_write2_b64 v55, v[46:47], v[42:43] offset0:64 offset1:116
	s_waitcnt vmcnt(4)
	ds_write2_b64 v55, v[44:45], v[48:49] offset0:168 offset1:220
	s_waitcnt vmcnt(2)
	ds_write2_b64 v56, v[22:23], v[40:41] offset0:16 offset1:68
	s_waitcnt vmcnt(0)
	ds_write2_b64 v56, v[50:51], v[52:53] offset0:120 offset1:172
	s_and_saveexec_b64 s[4:5], vcc
	s_cbranch_execz .LBB0_14
; %bb.13:
	v_add_co_u32_e32 v0, vcc, 0x2000, v0
	v_mov_b32_e32 v74, 51
	s_nop 0
	v_addc_co_u32_e32 v1, vcc, 0, v1, vcc
	global_load_dwordx2 v[0:1], v[0:1], off offset:1792
	v_mov_b64_e32 v[80:81], 51
	s_waitcnt vmcnt(0)
	ds_write_b64 v75, v[0:1] offset:9984
.LBB0_14:
	s_or_b64 exec, exec, s[4:5]
.LBB0_15:
	s_or_b64 exec, exec, s[10:11]
	v_lshlrev_b32_e32 v0, 3, v74
	v_add_u32_e32 v142, 0, v0
	s_waitcnt lgkmcnt(0)
	; wave barrier
	s_waitcnt lgkmcnt(0)
	v_sub_u32_e32 v4, 0, v0
	ds_read_b32 v0, v142
	ds_read_b32 v1, v4 offset:9984
	s_add_u32 s4, s8, 0x26f0
	s_addc_u32 s5, s9, 0
	v_cmp_ne_u32_e32 vcc, 0, v74
	s_waitcnt lgkmcnt(0)
	v_add_f32_e32 v2, v1, v0
	v_sub_f32_e32 v3, v0, v1
	s_and_saveexec_b64 s[10:11], vcc
	s_xor_b64 s[10:11], exec, s[10:11]
	s_cbranch_execz .LBB0_17
; %bb.16:
	v_lshl_add_u64 v[0:1], v[80:81], 3, s[4:5]
	global_load_dwordx2 v[0:1], v[0:1], off
	ds_read_b32 v5, v4 offset:9988
	ds_read_b32 v9, v142 offset:4
	v_mov_b32_e32 v6, v3
	v_mov_b32_e32 v8, v2
	;; [unrolled: 1-line block ×3, first 2 shown]
	s_waitcnt lgkmcnt(0)
	v_add_f32_e32 v7, v5, v9
	v_sub_f32_e32 v9, v9, v5
	v_mov_b32_e32 v10, v7
	s_waitcnt vmcnt(0)
	v_pk_mul_f32 v[12:13], v[6:7], v[0:1] op_sel:[0,1]
	v_pk_fma_f32 v[6:7], v[6:7], v[0:1], v[8:9] op_sel:[0,1,0]
	v_mov_b32_e32 v3, v13
	v_mov_b32_e32 v13, v9
	v_pk_fma_f32 v[14:15], v[0:1], v[10:11], v[6:7] neg_lo:[1,0,0] neg_hi:[1,0,0]
	v_pk_fma_f32 v[6:7], v[0:1], v[10:11], v[6:7] op_sel_hi:[0,1,1]
	v_pk_add_f32 v[2:3], v[2:3], v[12:13] neg_lo:[0,1] neg_hi:[0,1]
	v_mov_b32_e32 v15, v7
	v_pk_fma_f32 v[0:1], v[0:1], v[10:11], v[2:3] op_sel_hi:[0,1,1]
	ds_write_b64 v4, v[0:1] offset:9984
	v_mov_b64_e32 v[2:3], v[14:15]
.LBB0_17:
	s_andn2_saveexec_b64 s[10:11], s[10:11]
	s_cbranch_execz .LBB0_19
; %bb.18:
	v_mov_b32_e32 v5, 0
	ds_read_b64 v[0:1], v5 offset:4992
	s_mov_b32 s12, 2.0
	s_mov_b32 s13, -2.0
	s_waitcnt lgkmcnt(0)
	v_pk_mul_f32 v[0:1], v[0:1], s[12:13]
	ds_write_b64 v5, v[0:1] offset:4992
.LBB0_19:
	s_or_b64 exec, exec, s[10:11]
	v_mov_b32_e32 v75, 0
	v_lshl_add_u64 v[0:1], v[74:75], 3, s[4:5]
	global_load_dwordx2 v[6:7], v[0:1], off offset:416
	global_load_dwordx2 v[8:9], v[0:1], off offset:832
	;; [unrolled: 1-line block ×4, first 2 shown]
	ds_write_b64 v142, v[2:3]
	ds_read_b64 v[2:3], v4 offset:9568
	ds_read_b64 v[14:15], v142 offset:416
	global_load_dwordx2 v[16:17], v[0:1], off offset:2080
	s_movk_i32 s4, 0x1000
	v_add_u32_e32 v29, 0x1400, v142
	v_add_u32_e32 v28, 0x400, v142
	s_waitcnt lgkmcnt(0)
	v_pk_add_f32 v[18:19], v[14:15], v[2:3]
	v_pk_add_f32 v[2:3], v[14:15], v[2:3] neg_lo:[0,1] neg_hi:[0,1]
	v_mov_b32_e32 v14, v19
	v_mov_b32_e32 v15, v2
	;; [unrolled: 1-line block ×3, first 2 shown]
	v_add_u32_e32 v86, 0x800, v142
	v_add_u32_e32 v54, 0x2000, v142
	;; [unrolled: 1-line block ×13, first 2 shown]
	v_lshl_add_u32 v55, v145, 4, 0
	v_and_b32_e32 v87, 1, v74
	v_lshl_add_u32 v56, v144, 4, 0
	v_lshl_add_u32 v57, v143, 4, 0
	;; [unrolled: 1-line block ×3, first 2 shown]
	v_lshlrev_b32_e32 v78, 1, v74
	v_lshlrev_b32_e32 v82, 1, v151
	s_movk_i32 s5, 0x2fc
	s_waitcnt vmcnt(4)
	v_pk_mul_f32 v[20:21], v[14:15], v[6:7] op_sel:[0,1]
	s_nop 0
	v_pk_add_f32 v[22:23], v[18:19], v[20:21] op_sel:[0,1] op_sel_hi:[1,0]
	v_mov_b32_e32 v19, v20
	v_mov_b32_e32 v2, v21
	v_pk_fma_f32 v[20:21], v[6:7], v[14:15], v[22:23] neg_lo:[1,0,0] neg_hi:[1,0,0]
	v_pk_fma_f32 v[22:23], v[6:7], v[14:15], v[22:23] op_sel_hi:[0,1,1]
	v_pk_add_f32 v[2:3], v[18:19], v[2:3] neg_lo:[0,1] neg_hi:[0,1]
	v_mov_b32_e32 v21, v23
	v_pk_fma_f32 v[2:3], v[6:7], v[14:15], v[2:3] op_sel_hi:[0,1,1]
	ds_write_b64 v142, v[20:21] offset:416
	ds_write_b64 v4, v[2:3] offset:9568
	ds_read_b64 v[2:3], v4 offset:9152
	ds_read_b64 v[6:7], v142 offset:832
	global_load_dwordx2 v[14:15], v[0:1], off offset:2496
	s_waitcnt lgkmcnt(0)
	v_pk_add_f32 v[18:19], v[6:7], v[2:3]
	v_pk_add_f32 v[2:3], v[6:7], v[2:3] neg_lo:[0,1] neg_hi:[0,1]
	v_mov_b32_e32 v6, v19
	v_mov_b32_e32 v7, v2
	v_mov_b32_e32 v19, v3
	s_waitcnt vmcnt(4)
	v_pk_mul_f32 v[20:21], v[6:7], v[8:9] op_sel:[0,1]
	s_nop 0
	v_pk_add_f32 v[22:23], v[18:19], v[20:21] op_sel:[0,1] op_sel_hi:[1,0]
	v_mov_b32_e32 v19, v20
	v_mov_b32_e32 v2, v21
	v_pk_fma_f32 v[20:21], v[8:9], v[6:7], v[22:23] neg_lo:[1,0,0] neg_hi:[1,0,0]
	v_pk_fma_f32 v[22:23], v[8:9], v[6:7], v[22:23] op_sel_hi:[0,1,1]
	v_pk_add_f32 v[2:3], v[18:19], v[2:3] neg_lo:[0,1] neg_hi:[0,1]
	v_mov_b32_e32 v21, v23
	v_pk_fma_f32 v[2:3], v[8:9], v[6:7], v[2:3] op_sel_hi:[0,1,1]
	ds_write_b64 v142, v[20:21] offset:832
	ds_write_b64 v4, v[2:3] offset:9152
	ds_read_b64 v[2:3], v4 offset:8736
	ds_read_b64 v[6:7], v142 offset:1248
	global_load_dwordx2 v[8:9], v[0:1], off offset:2912
	s_waitcnt lgkmcnt(0)
	v_pk_add_f32 v[18:19], v[6:7], v[2:3]
	v_pk_add_f32 v[2:3], v[6:7], v[2:3] neg_lo:[0,1] neg_hi:[0,1]
	v_mov_b32_e32 v6, v19
	v_mov_b32_e32 v7, v2
	v_mov_b32_e32 v19, v3
	;; [unrolled: 22-line block ×3, first 2 shown]
	s_waitcnt vmcnt(4)
	v_pk_mul_f32 v[20:21], v[6:7], v[12:13] op_sel:[0,1]
	s_nop 0
	v_pk_add_f32 v[22:23], v[18:19], v[20:21] op_sel:[0,1] op_sel_hi:[1,0]
	v_mov_b32_e32 v19, v20
	v_mov_b32_e32 v2, v21
	v_pk_fma_f32 v[20:21], v[12:13], v[6:7], v[22:23] neg_lo:[1,0,0] neg_hi:[1,0,0]
	v_pk_fma_f32 v[22:23], v[12:13], v[6:7], v[22:23] op_sel_hi:[0,1,1]
	v_pk_add_f32 v[2:3], v[18:19], v[2:3] neg_lo:[0,1] neg_hi:[0,1]
	v_mov_b32_e32 v21, v23
	v_pk_fma_f32 v[2:3], v[12:13], v[6:7], v[2:3] op_sel_hi:[0,1,1]
	ds_write_b64 v142, v[20:21] offset:1664
	ds_write_b64 v4, v[2:3] offset:8320
	ds_read_b64 v[2:3], v4 offset:7904
	ds_read_b64 v[6:7], v142 offset:2080
	global_load_dwordx2 v[12:13], v[0:1], off offset:3744
	v_add_co_u32_e32 v0, vcc, s4, v0
	s_movk_i32 s4, 0x7c
	s_waitcnt lgkmcnt(0)
	v_pk_add_f32 v[18:19], v[6:7], v[2:3]
	v_pk_add_f32 v[2:3], v[6:7], v[2:3] neg_lo:[0,1] neg_hi:[0,1]
	v_mov_b32_e32 v6, v19
	v_mov_b32_e32 v7, v2
	;; [unrolled: 1-line block ×3, first 2 shown]
	s_waitcnt vmcnt(4)
	v_pk_mul_f32 v[20:21], v[6:7], v[16:17] op_sel:[0,1]
	v_addc_co_u32_e32 v1, vcc, 0, v1, vcc
	v_pk_add_f32 v[22:23], v[18:19], v[20:21] op_sel:[0,1] op_sel_hi:[1,0]
	v_mov_b32_e32 v19, v20
	v_mov_b32_e32 v2, v21
	v_pk_fma_f32 v[20:21], v[16:17], v[6:7], v[22:23] neg_lo:[1,0,0] neg_hi:[1,0,0]
	v_pk_fma_f32 v[22:23], v[16:17], v[6:7], v[22:23] op_sel_hi:[0,1,1]
	v_pk_add_f32 v[2:3], v[18:19], v[2:3] neg_lo:[0,1] neg_hi:[0,1]
	v_mov_b32_e32 v21, v23
	v_pk_fma_f32 v[2:3], v[16:17], v[6:7], v[2:3] op_sel_hi:[0,1,1]
	ds_write_b64 v142, v[20:21] offset:2080
	ds_write_b64 v4, v[2:3] offset:7904
	ds_read_b64 v[2:3], v4 offset:7488
	ds_read_b64 v[6:7], v142 offset:2496
	global_load_dwordx2 v[16:17], v[0:1], off offset:64
	v_cmp_gt_u32_e32 vcc, 44, v74
	s_waitcnt lgkmcnt(0)
	v_pk_add_f32 v[18:19], v[6:7], v[2:3]
	v_pk_add_f32 v[2:3], v[6:7], v[2:3] neg_lo:[0,1] neg_hi:[0,1]
	v_mov_b32_e32 v6, v19
	v_mov_b32_e32 v7, v2
	;; [unrolled: 1-line block ×3, first 2 shown]
	s_waitcnt vmcnt(4)
	v_pk_mul_f32 v[20:21], v[6:7], v[14:15] op_sel:[0,1]
	s_nop 0
	v_pk_add_f32 v[22:23], v[18:19], v[20:21] op_sel:[0,1] op_sel_hi:[1,0]
	v_mov_b32_e32 v19, v20
	v_mov_b32_e32 v2, v21
	v_pk_fma_f32 v[20:21], v[14:15], v[6:7], v[22:23] neg_lo:[1,0,0] neg_hi:[1,0,0]
	v_pk_fma_f32 v[22:23], v[14:15], v[6:7], v[22:23] op_sel_hi:[0,1,1]
	v_pk_add_f32 v[2:3], v[18:19], v[2:3] neg_lo:[0,1] neg_hi:[0,1]
	v_mov_b32_e32 v21, v23
	v_pk_fma_f32 v[2:3], v[14:15], v[6:7], v[2:3] op_sel_hi:[0,1,1]
	ds_write_b64 v142, v[20:21] offset:2496
	ds_write_b64 v4, v[2:3] offset:7488
	ds_read_b64 v[2:3], v4 offset:7072
	ds_read_b64 v[6:7], v142 offset:2912
	global_load_dwordx2 v[0:1], v[0:1], off offset:480
	s_waitcnt lgkmcnt(0)
	v_pk_add_f32 v[14:15], v[6:7], v[2:3]
	v_pk_add_f32 v[2:3], v[6:7], v[2:3] neg_lo:[0,1] neg_hi:[0,1]
	v_mov_b32_e32 v6, v15
	v_mov_b32_e32 v7, v2
	v_mov_b32_e32 v15, v3
	s_waitcnt vmcnt(4)
	v_pk_mul_f32 v[18:19], v[6:7], v[8:9] op_sel:[0,1]
	s_nop 0
	v_pk_add_f32 v[20:21], v[14:15], v[18:19] op_sel:[0,1] op_sel_hi:[1,0]
	v_mov_b32_e32 v15, v18
	v_mov_b32_e32 v2, v19
	v_pk_fma_f32 v[18:19], v[8:9], v[6:7], v[20:21] neg_lo:[1,0,0] neg_hi:[1,0,0]
	v_pk_fma_f32 v[20:21], v[8:9], v[6:7], v[20:21] op_sel_hi:[0,1,1]
	v_pk_add_f32 v[2:3], v[14:15], v[2:3] neg_lo:[0,1] neg_hi:[0,1]
	v_mov_b32_e32 v19, v21
	v_pk_fma_f32 v[2:3], v[8:9], v[6:7], v[2:3] op_sel_hi:[0,1,1]
	ds_write_b64 v142, v[18:19] offset:2912
	ds_write_b64 v4, v[2:3] offset:7072
	ds_read_b64 v[2:3], v4 offset:6656
	ds_read_b64 v[6:7], v142 offset:3328
	s_waitcnt lgkmcnt(0)
	v_pk_add_f32 v[8:9], v[6:7], v[2:3]
	v_pk_add_f32 v[2:3], v[6:7], v[2:3] neg_lo:[0,1] neg_hi:[0,1]
	v_mov_b32_e32 v6, v9
	v_mov_b32_e32 v7, v2
	;; [unrolled: 1-line block ×3, first 2 shown]
	s_waitcnt vmcnt(3)
	v_pk_mul_f32 v[14:15], v[6:7], v[10:11] op_sel:[0,1]
	s_nop 0
	v_pk_add_f32 v[18:19], v[8:9], v[14:15] op_sel:[0,1] op_sel_hi:[1,0]
	v_mov_b32_e32 v9, v14
	v_mov_b32_e32 v2, v15
	v_pk_fma_f32 v[14:15], v[10:11], v[6:7], v[18:19] neg_lo:[1,0,0] neg_hi:[1,0,0]
	v_pk_fma_f32 v[18:19], v[10:11], v[6:7], v[18:19] op_sel_hi:[0,1,1]
	v_pk_add_f32 v[2:3], v[8:9], v[2:3] neg_lo:[0,1] neg_hi:[0,1]
	v_mov_b32_e32 v15, v19
	v_pk_fma_f32 v[2:3], v[10:11], v[6:7], v[2:3] op_sel_hi:[0,1,1]
	ds_write_b64 v142, v[14:15] offset:3328
	ds_write_b64 v4, v[2:3] offset:6656
	ds_read_b64 v[2:3], v4 offset:6240
	ds_read_b64 v[6:7], v142 offset:3744
	v_add_u32_e32 v18, 0x1000, v142
	v_add_u32_e32 v19, 0x1800, v142
	s_waitcnt lgkmcnt(0)
	v_pk_add_f32 v[8:9], v[6:7], v[2:3]
	v_pk_add_f32 v[2:3], v[6:7], v[2:3] neg_lo:[0,1] neg_hi:[0,1]
	v_mov_b32_e32 v6, v9
	v_mov_b32_e32 v7, v2
	;; [unrolled: 1-line block ×3, first 2 shown]
	s_waitcnt vmcnt(2)
	v_pk_mul_f32 v[10:11], v[6:7], v[12:13] op_sel:[0,1]
	s_nop 0
	v_pk_add_f32 v[14:15], v[8:9], v[10:11] op_sel:[0,1] op_sel_hi:[1,0]
	v_mov_b32_e32 v9, v10
	v_mov_b32_e32 v2, v11
	v_pk_fma_f32 v[10:11], v[12:13], v[6:7], v[14:15] neg_lo:[1,0,0] neg_hi:[1,0,0]
	v_pk_fma_f32 v[14:15], v[12:13], v[6:7], v[14:15] op_sel_hi:[0,1,1]
	v_pk_add_f32 v[2:3], v[8:9], v[2:3] neg_lo:[0,1] neg_hi:[0,1]
	v_mov_b32_e32 v11, v15
	v_pk_fma_f32 v[2:3], v[12:13], v[6:7], v[2:3] op_sel_hi:[0,1,1]
	ds_write_b64 v142, v[10:11] offset:3744
	ds_write_b64 v4, v[2:3] offset:6240
	ds_read_b64 v[2:3], v4 offset:5824
	ds_read_b64 v[6:7], v142 offset:4160
	s_waitcnt lgkmcnt(0)
	v_pk_add_f32 v[8:9], v[6:7], v[2:3]
	v_pk_add_f32 v[2:3], v[6:7], v[2:3] neg_lo:[0,1] neg_hi:[0,1]
	v_mov_b32_e32 v6, v9
	v_mov_b32_e32 v7, v2
	;; [unrolled: 1-line block ×3, first 2 shown]
	s_waitcnt vmcnt(1)
	v_pk_mul_f32 v[10:11], v[6:7], v[16:17] op_sel:[0,1]
	s_nop 0
	v_pk_add_f32 v[12:13], v[8:9], v[10:11] op_sel:[0,1] op_sel_hi:[1,0]
	v_mov_b32_e32 v9, v10
	v_mov_b32_e32 v2, v11
	v_pk_fma_f32 v[14:15], v[16:17], v[6:7], v[12:13] neg_lo:[1,0,0] neg_hi:[1,0,0]
	v_pk_fma_f32 v[12:13], v[16:17], v[6:7], v[12:13] op_sel_hi:[0,1,1]
	v_pk_add_f32 v[2:3], v[8:9], v[2:3] neg_lo:[0,1] neg_hi:[0,1]
	v_mov_b32_e32 v15, v13
	v_pk_fma_f32 v[2:3], v[16:17], v[6:7], v[2:3] op_sel_hi:[0,1,1]
	ds_write_b64 v142, v[14:15] offset:4160
	ds_write_b64 v4, v[2:3] offset:5824
	ds_read_b64 v[2:3], v4 offset:5408
	ds_read_b64 v[6:7], v142 offset:4576
	v_lshl_add_u32 v16, v74, 3, v142
	s_waitcnt lgkmcnt(0)
	v_pk_add_f32 v[8:9], v[6:7], v[2:3]
	v_pk_add_f32 v[2:3], v[6:7], v[2:3] neg_lo:[0,1] neg_hi:[0,1]
	v_mov_b32_e32 v6, v9
	v_mov_b32_e32 v7, v2
	;; [unrolled: 1-line block ×3, first 2 shown]
	s_waitcnt vmcnt(0)
	v_pk_mul_f32 v[10:11], v[6:7], v[0:1] op_sel:[0,1]
	s_nop 0
	v_pk_add_f32 v[12:13], v[8:9], v[10:11] op_sel:[0,1] op_sel_hi:[1,0]
	v_mov_b32_e32 v9, v10
	v_mov_b32_e32 v2, v11
	v_pk_fma_f32 v[14:15], v[0:1], v[6:7], v[12:13] neg_lo:[1,0,0] neg_hi:[1,0,0]
	v_pk_fma_f32 v[12:13], v[0:1], v[6:7], v[12:13] op_sel_hi:[0,1,1]
	v_pk_add_f32 v[2:3], v[8:9], v[2:3] neg_lo:[0,1] neg_hi:[0,1]
	v_mov_b32_e32 v15, v13
	v_pk_fma_f32 v[0:1], v[0:1], v[6:7], v[2:3] op_sel_hi:[0,1,1]
	ds_write_b64 v142, v[14:15] offset:4576
	ds_write_b64 v4, v[0:1] offset:5408
	s_waitcnt lgkmcnt(0)
	; wave barrier
	s_waitcnt lgkmcnt(0)
	s_waitcnt lgkmcnt(0)
	; wave barrier
	s_waitcnt lgkmcnt(0)
	ds_read2_b64 v[0:3], v142 offset1:52
	ds_read2_b64 v[4:7], v18 offset0:112 offset1:164
	ds_read2_b64 v[8:11], v142 offset0:104 offset1:156
	ds_read2_b64 v[12:15], v29 offset0:88 offset1:140
	ds_read2_b64 v[20:23], v28 offset0:80 offset1:132
	ds_read2_b64 v[24:27], v19 offset0:64 offset1:116
	s_waitcnt lgkmcnt(4)
	v_pk_add_f32 v[4:5], v[0:1], v[4:5] neg_lo:[0,1] neg_hi:[0,1]
	ds_read2_b64 v[30:33], v86 offset0:56 offset1:108
	ds_read2_b64 v[34:37], v19 offset0:168 offset1:220
	;; [unrolled: 1-line block ×3, first 2 shown]
	v_pk_fma_f32 v[0:1], v[0:1], 2.0, v[4:5] op_sel_hi:[1,0,1] neg_lo:[0,0,1] neg_hi:[0,0,1]
	ds_read2_b64 v[42:45], v54 offset0:16 offset1:68
	ds_read2_b64 v[46:49], v18 offset0:8 offset1:60
	;; [unrolled: 1-line block ×3, first 2 shown]
	s_waitcnt lgkmcnt(0)
	; wave barrier
	s_waitcnt lgkmcnt(0)
	ds_write2_b64 v16, v[0:1], v[4:5] offset1:1
	v_pk_add_f32 v[0:1], v[2:3], v[6:7] neg_lo:[0,1] neg_hi:[0,1]
	v_lshl_add_u32 v4, v151, 4, 0
	v_pk_fma_f32 v[2:3], v[2:3], 2.0, v[0:1] op_sel_hi:[1,0,1] neg_lo:[0,0,1] neg_hi:[0,0,1]
	ds_write2_b64 v4, v[2:3], v[0:1] offset1:1
	v_pk_add_f32 v[0:1], v[8:9], v[12:13] neg_lo:[0,1] neg_hi:[0,1]
	v_lshl_add_u32 v4, v79, 4, 0
	v_pk_fma_f32 v[2:3], v[8:9], 2.0, v[0:1] op_sel_hi:[1,0,1] neg_lo:[0,0,1] neg_hi:[0,0,1]
	;; [unrolled: 4-line block ×3, first 2 shown]
	v_pk_add_f32 v[4:5], v[20:21], v[24:25] neg_lo:[0,1] neg_hi:[0,1]
	ds_write2_b64 v12, v[2:3], v[0:1] offset1:1
	v_pk_add_f32 v[0:1], v[30:31], v[34:35] neg_lo:[0,1] neg_hi:[0,1]
	v_pk_add_f32 v[6:7], v[22:23], v[26:27] neg_lo:[0,1] neg_hi:[0,1]
	v_pk_fma_f32 v[8:9], v[20:21], 2.0, v[4:5] op_sel_hi:[1,0,1] neg_lo:[0,0,1] neg_hi:[0,0,1]
	v_pk_fma_f32 v[2:3], v[30:31], 2.0, v[0:1] op_sel_hi:[1,0,1] neg_lo:[0,0,1] neg_hi:[0,0,1]
	v_pk_add_f32 v[12:13], v[32:33], v[36:37] neg_lo:[0,1] neg_hi:[0,1]
	v_pk_add_f32 v[16:17], v[38:39], v[42:43] neg_lo:[0,1] neg_hi:[0,1]
	;; [unrolled: 1-line block ×5, first 2 shown]
	v_pk_fma_f32 v[10:11], v[22:23], 2.0, v[6:7] op_sel_hi:[1,0,1] neg_lo:[0,0,1] neg_hi:[0,0,1]
	v_pk_fma_f32 v[14:15], v[32:33], 2.0, v[12:13] op_sel_hi:[1,0,1] neg_lo:[0,0,1] neg_hi:[0,0,1]
	v_lshl_add_u32 v36, v147, 4, 0
	v_pk_fma_f32 v[22:23], v[38:39], 2.0, v[16:17] op_sel_hi:[1,0,1] neg_lo:[0,0,1] neg_hi:[0,0,1]
	v_lshl_add_u32 v37, v148, 4, 0
	v_pk_fma_f32 v[24:25], v[40:41], 2.0, v[20:21] op_sel_hi:[1,0,1] neg_lo:[0,0,1] neg_hi:[0,0,1]
	v_pk_fma_f32 v[32:33], v[46:47], 2.0, v[26:27] op_sel_hi:[1,0,1] neg_lo:[0,0,1] neg_hi:[0,0,1]
	;; [unrolled: 1-line block ×3, first 2 shown]
	v_lshl_add_u32 v38, v149, 4, 0
	v_lshl_add_u32 v39, v150, 4, 0
	ds_write2_b64 v55, v[8:9], v[4:5] offset1:1
	ds_write2_b64 v56, v[10:11], v[6:7] offset1:1
	ds_write2_b64 v57, v[2:3], v[0:1] offset1:1
	ds_write2_b64 v58, v[14:15], v[12:13] offset1:1
	ds_write2_b64 v36, v[22:23], v[16:17] offset1:1
	ds_write2_b64 v37, v[24:25], v[20:21] offset1:1
	ds_write2_b64 v38, v[32:33], v[26:27] offset1:1
	ds_write2_b64 v39, v[34:35], v[30:31] offset1:1
	v_lshlrev_b32_e32 v0, 3, v87
	s_waitcnt lgkmcnt(0)
	; wave barrier
	s_waitcnt lgkmcnt(0)
	global_load_dwordx2 v[10:11], v0, s[8:9]
	ds_read2_b64 v[0:3], v54 offset0:16 offset1:68
	s_waitcnt vmcnt(0)
	v_mov_b32_e32 v4, v11
	s_waitcnt lgkmcnt(0)
	v_pk_mul_f32 v[8:9], v[2:3], v[4:5] op_sel:[1,0] op_sel_hi:[0,1]
	ds_read2_b64 v[4:7], v19 offset0:168 offset1:220
	v_pk_fma_f32 v[20:21], v[2:3], v[10:11], v[8:9] neg_lo:[0,0,1] neg_hi:[0,0,1]
	v_pk_mul_f32 v[8:9], v[2:3], v[10:11] op_sel:[1,0] op_sel_hi:[0,1]
	v_mov_b32_e32 v9, v8
	v_pk_fma_f32 v[12:13], v[2:3], v[10:11], v[8:9] op_sel:[1,0,0] op_sel_hi:[0,1,1]
	s_waitcnt lgkmcnt(0)
	v_pk_mul_f32 v[2:3], v[4:5], v[10:11] op_sel:[0,1]
	v_pk_mul_f32 v[8:9], v[6:7], v[10:11] op_sel:[0,1]
	v_pk_fma_f32 v[26:27], v[4:5], v[10:11], v[2:3] op_sel:[0,0,1] op_sel_hi:[1,1,0] neg_lo:[0,0,1] neg_hi:[0,0,1]
	v_pk_fma_f32 v[14:15], v[4:5], v[10:11], v[2:3] op_sel:[0,0,1] op_sel_hi:[1,0,0]
	ds_read2_b64 v[2:5], v54 offset0:120 offset1:172
	v_pk_fma_f32 v[16:17], v[6:7], v[10:11], v[8:9] op_sel:[0,0,1] op_sel_hi:[1,0,0]
	v_pk_fma_f32 v[38:39], v[6:7], v[10:11], v[8:9] op_sel:[0,0,1] op_sel_hi:[1,0,0] neg_lo:[0,0,1] neg_hi:[0,0,1]
	v_pk_mul_f32 v[6:7], v[0:1], v[10:11] op_sel:[0,1]
	v_mov_b32_e32 v39, v17
	v_pk_fma_f32 v[40:41], v[0:1], v[10:11], v[6:7] op_sel:[0,0,1] op_sel_hi:[1,0,0]
	v_pk_fma_f32 v[42:43], v[0:1], v[10:11], v[6:7] op_sel:[0,0,1] op_sel_hi:[1,0,0] neg_lo:[0,0,1] neg_hi:[0,0,1]
	ds_read2_b64 v[6:9], v19 offset0:64 offset1:116
	s_waitcnt lgkmcnt(1)
	v_pk_mul_f32 v[0:1], v[4:5], v[10:11] op_sel:[0,1]
	v_mov_b32_e32 v43, v41
	v_pk_fma_f32 v[44:45], v[4:5], v[10:11], v[0:1] op_sel:[0,0,1] op_sel_hi:[1,1,0] neg_lo:[0,0,1] neg_hi:[0,0,1]
	v_pk_fma_f32 v[46:47], v[4:5], v[10:11], v[0:1] op_sel:[0,0,1] op_sel_hi:[1,0,0]
	v_pk_mul_f32 v[0:1], v[2:3], v[10:11] op_sel:[0,1]
	s_waitcnt lgkmcnt(0)
	v_pk_mul_f32 v[4:5], v[8:9], v[10:11] op_sel:[0,1]
	v_pk_fma_f32 v[48:49], v[2:3], v[10:11], v[0:1] op_sel:[0,0,1] op_sel_hi:[1,1,0] neg_lo:[0,0,1] neg_hi:[0,0,1]
	v_pk_fma_f32 v[50:51], v[2:3], v[10:11], v[0:1] op_sel:[0,0,1] op_sel_hi:[1,0,0]
	ds_read2_b64 v[0:3], v29 offset0:88 offset1:140
	v_pk_fma_f32 v[52:53], v[8:9], v[10:11], v[4:5] op_sel:[0,0,1] op_sel_hi:[1,1,0] neg_lo:[0,0,1] neg_hi:[0,0,1]
	v_pk_fma_f32 v[54:55], v[8:9], v[10:11], v[4:5] op_sel:[0,0,1] op_sel_hi:[1,0,0]
	v_pk_mul_f32 v[4:5], v[6:7], v[10:11] op_sel:[0,1]
	v_mov_b32_e32 v49, v51
	v_pk_fma_f32 v[56:57], v[6:7], v[10:11], v[4:5] op_sel:[0,0,1] op_sel_hi:[1,1,0] neg_lo:[0,0,1] neg_hi:[0,0,1]
	v_pk_fma_f32 v[58:59], v[6:7], v[10:11], v[4:5] op_sel:[0,0,1] op_sel_hi:[1,0,0]
	ds_read2_b64 v[4:7], v18 offset0:112 offset1:164
	s_waitcnt lgkmcnt(1)
	v_pk_mul_f32 v[8:9], v[10:11], v[2:3] op_sel:[0,1]
	v_mov_b32_e32 v57, v59
	v_pk_fma_f32 v[60:61], v[10:11], v[2:3], v[8:9] op_sel:[0,0,1] op_sel_hi:[1,1,0] neg_lo:[0,0,1] neg_hi:[0,0,1]
	v_pk_fma_f32 v[62:63], v[10:11], v[2:3], v[8:9] op_sel:[0,0,1] op_sel_hi:[1,0,0]
	v_pk_mul_f32 v[2:3], v[10:11], v[0:1] op_sel:[0,1]
	v_mov_b32_e32 v61, v63
	v_pk_fma_f32 v[64:65], v[10:11], v[0:1], v[2:3] op_sel:[0,0,1] op_sel_hi:[1,1,0] neg_lo:[0,0,1] neg_hi:[0,0,1]
	v_pk_fma_f32 v[66:67], v[10:11], v[0:1], v[2:3] op_sel:[0,0,1] op_sel_hi:[1,0,0]
	s_waitcnt lgkmcnt(0)
	v_pk_mul_f32 v[0:1], v[10:11], v[6:7] op_sel:[0,1]
	v_mov_b32_e32 v65, v67
	v_pk_fma_f32 v[68:69], v[10:11], v[6:7], v[0:1] op_sel:[0,0,1] op_sel_hi:[1,1,0] neg_lo:[0,0,1] neg_hi:[0,0,1]
	v_pk_fma_f32 v[70:71], v[10:11], v[6:7], v[0:1] op_sel:[0,0,1] op_sel_hi:[1,0,0]
	v_pk_mul_f32 v[0:1], v[10:11], v[4:5] op_sel:[0,1]
	v_mov_b32_e32 v69, v71
	v_pk_fma_f32 v[6:7], v[10:11], v[4:5], v[0:1] op_sel:[0,0,1] op_sel_hi:[1,1,0] neg_lo:[0,0,1] neg_hi:[0,0,1]
	v_pk_fma_f32 v[0:1], v[10:11], v[4:5], v[0:1] op_sel:[0,0,1] op_sel_hi:[1,0,0]
	v_and_or_b32 v4, v78, s4, v87
	v_mov_b32_e32 v7, v1
	ds_read2_b64 v[0:3], v142 offset1:52
	v_lshl_add_u32 v12, v4, 3, 0
	s_movk_i32 s4, 0xfc
	v_mov_b32_e32 v21, v13
	v_mov_b32_e32 v27, v15
	s_waitcnt lgkmcnt(0)
	v_pk_add_f32 v[84:85], v[0:1], v[6:7] neg_lo:[0,1] neg_hi:[0,1]
	ds_read2_b64 v[4:7], v142 offset0:104 offset1:156
	ds_read2_b64 v[22:25], v28 offset0:80 offset1:132
	ds_read2_b64 v[30:33], v86 offset0:56 offset1:108
	ds_read2_b64 v[34:37], v86 offset0:160 offset1:212
	ds_read2_b64 v[8:11], v18 offset0:8 offset1:60
	v_pk_fma_f32 v[0:1], v[0:1], 2.0, v[84:85] op_sel_hi:[1,0,1] neg_lo:[0,0,1] neg_hi:[0,0,1]
	s_waitcnt lgkmcnt(0)
	; wave barrier
	s_waitcnt lgkmcnt(0)
	ds_write2_b64 v12, v[0:1], v[84:85] offset1:2
	v_pk_add_f32 v[0:1], v[2:3], v[68:69] neg_lo:[0,1] neg_hi:[0,1]
	v_and_or_b32 v12, v82, s4, v87
	v_pk_fma_f32 v[2:3], v[2:3], 2.0, v[0:1] op_sel_hi:[1,0,1] neg_lo:[0,0,1] neg_hi:[0,0,1]
	v_lshl_add_u32 v12, v12, 3, 0
	ds_write2_b64 v12, v[2:3], v[0:1] offset1:2
	s_movk_i32 s4, 0x1fc
	v_lshlrev_b32_e32 v0, 1, v79
	v_and_or_b32 v0, v0, s4, v87
	v_lshl_add_u32 v12, v0, 3, 0
	v_pk_add_f32 v[0:1], v[4:5], v[64:65] neg_lo:[0,1] neg_hi:[0,1]
	v_mov_b32_e32 v45, v47
	v_pk_fma_f32 v[2:3], v[4:5], 2.0, v[0:1] op_sel_hi:[1,0,1] neg_lo:[0,0,1] neg_hi:[0,0,1]
	v_lshlrev_b32_e32 v4, 1, v83
	ds_write2_b64 v12, v[2:3], v[0:1] offset1:2
	v_pk_add_f32 v[0:1], v[6:7], v[60:61] neg_lo:[0,1] neg_hi:[0,1]
	v_and_or_b32 v4, v4, s4, v87
	v_pk_fma_f32 v[2:3], v[6:7], 2.0, v[0:1] op_sel_hi:[1,0,1] neg_lo:[0,0,1] neg_hi:[0,0,1]
	v_lshl_add_u32 v4, v4, 3, 0
	ds_write2_b64 v4, v[2:3], v[0:1] offset1:2
	s_movk_i32 s4, 0x3fc
	v_lshlrev_b32_e32 v0, 1, v145
	v_and_or_b32 v0, v0, s4, v87
	v_lshl_add_u32 v4, v0, 3, 0
	v_pk_add_f32 v[0:1], v[22:23], v[56:57] neg_lo:[0,1] neg_hi:[0,1]
	v_pk_add_f32 v[12:13], v[8:9], v[48:49] neg_lo:[0,1] neg_hi:[0,1]
	v_pk_fma_f32 v[2:3], v[22:23], 2.0, v[0:1] op_sel_hi:[1,0,1] neg_lo:[0,0,1] neg_hi:[0,0,1]
	ds_write2_b64 v4, v[2:3], v[0:1] offset1:2
	v_pk_fma_f32 v[6:7], v[8:9], 2.0, v[12:13] op_sel_hi:[1,0,1] neg_lo:[0,0,1] neg_hi:[0,0,1]
	v_pk_add_f32 v[4:5], v[36:37], v[20:21] neg_lo:[0,1] neg_hi:[0,1]
	v_pk_add_f32 v[8:9], v[34:35], v[42:43] neg_lo:[0,1] neg_hi:[0,1]
	;; [unrolled: 1-line block ×3, first 2 shown]
	v_pk_fma_f32 v[22:23], v[34:35], 2.0, v[8:9] op_sel_hi:[1,0,1] neg_lo:[0,0,1] neg_hi:[0,0,1]
	v_pk_fma_f32 v[2:3], v[32:33], 2.0, v[20:21] op_sel_hi:[1,0,1] neg_lo:[0,0,1] neg_hi:[0,0,1]
	v_lshlrev_b32_e32 v33, 1, v146
	v_lshlrev_b32_e32 v34, 1, v147
	;; [unrolled: 1-line block ×3, first 2 shown]
	v_pk_add_f32 v[16:17], v[10:11], v[44:45] neg_lo:[0,1] neg_hi:[0,1]
	v_pk_add_f32 v[0:1], v[30:31], v[26:27] neg_lo:[0,1] neg_hi:[0,1]
	v_mov_b32_e32 v53, v55
	v_lshlrev_b32_e32 v35, 1, v148
	v_and_or_b32 v33, v33, s4, v87
	v_and_or_b32 v34, v34, s4, v87
	s_movk_i32 s4, 0x7fc
	v_pk_fma_f32 v[14:15], v[10:11], 2.0, v[16:17] op_sel_hi:[1,0,1] neg_lo:[0,0,1] neg_hi:[0,0,1]
	v_pk_fma_f32 v[10:11], v[36:37], 2.0, v[4:5] op_sel_hi:[1,0,1] neg_lo:[0,0,1] neg_hi:[0,0,1]
	;; [unrolled: 1-line block ×3, first 2 shown]
	v_lshlrev_b32_e32 v32, 1, v143
	v_pk_add_f32 v[30:31], v[24:25], v[52:53] neg_lo:[0,1] neg_hi:[0,1]
	v_lshlrev_b32_e32 v36, 1, v149
	v_lshlrev_b32_e32 v37, 1, v150
	v_and_or_b32 v29, v29, s5, v87
	v_and_or_b32 v35, v35, s4, v87
	s_movk_i32 s4, 0x4fc
	v_pk_fma_f32 v[24:25], v[24:25], 2.0, v[30:31] op_sel_hi:[1,0,1] neg_lo:[0,0,1] neg_hi:[0,0,1]
	v_lshl_add_u32 v29, v29, 3, 0
	v_and_or_b32 v32, v32, s5, v87
	v_and_or_b32 v36, v36, s4, v87
	;; [unrolled: 1-line block ×3, first 2 shown]
	v_lshl_add_u32 v32, v32, 3, 0
	v_lshl_add_u32 v33, v33, 3, 0
	;; [unrolled: 1-line block ×6, first 2 shown]
	ds_write2_b64 v29, v[24:25], v[30:31] offset1:2
	ds_write2_b64 v32, v[26:27], v[0:1] offset1:2
	;; [unrolled: 1-line block ×7, first 2 shown]
	s_waitcnt lgkmcnt(0)
	; wave barrier
	s_waitcnt lgkmcnt(0)
	ds_read2_b64 v[24:27], v142 offset1:96
	ds_read2_b64 v[52:55], v28 offset0:64 offset1:160
	ds_read2_b64 v[56:59], v86 offset0:128 offset1:224
	v_add_u32_e32 v29, 0x1c00, v142
	ds_read_b64 v[88:89], v142 offset:9216
	ds_read2_b64 v[60:63], v18 offset0:64 offset1:160
	ds_read2_b64 v[64:67], v19 offset1:96
	ds_read2_b64 v[68:71], v29 offset0:64 offset1:160
                                        ; implicit-def: $vgpr84
	s_and_saveexec_b64 s[4:5], vcc
	s_cbranch_execz .LBB0_21
; %bb.20:
	v_add_u32_e32 v4, 0xc00, v142
	ds_read2_b64 v[0:3], v142 offset0:52 offset1:148
	ds_read2_b64 v[20:23], v28 offset0:116 offset1:212
	;; [unrolled: 1-line block ×6, first 2 shown]
	ds_read_b64 v[84:85], v142 offset:9632
.LBB0_21:
	s_or_b64 exec, exec, s[4:5]
	v_and_b32_e32 v152, 3, v74
	v_mul_u32_u24_e32 v28, 12, v152
	v_lshlrev_b32_e32 v86, 3, v28
	global_load_dwordx4 v[40:43], v86, s[8:9] offset:16
	global_load_dwordx4 v[36:39], v86, s[8:9] offset:32
	;; [unrolled: 1-line block ×6, first 2 shown]
	s_waitcnt lgkmcnt(4)
	v_mov_b32_e32 v90, v57
	v_mov_b32_e32 v91, v56
	;; [unrolled: 1-line block ×4, first 2 shown]
	s_waitcnt lgkmcnt(2)
	v_mov_b32_e32 v96, v63
	v_mov_b32_e32 v97, v62
	;; [unrolled: 1-line block ×4, first 2 shown]
	s_waitcnt lgkmcnt(1)
	v_mov_b32_e32 v98, v65
	v_mov_b32_e32 v99, v64
	s_mov_b32 s4, 0xbeedf032
	s_mov_b32 s5, 0x3f62ad3f
	;; [unrolled: 1-line block ×24, first 2 shown]
	s_waitcnt lgkmcnt(0)
	; wave barrier
	s_waitcnt lgkmcnt(0)
	s_mov_b32 s20, 0x3f29c268
	s_mov_b32 s50, s17
	;; [unrolled: 1-line block ×24, first 2 shown]
	s_waitcnt vmcnt(5)
	v_pk_mul_f32 v[128:129], v[40:41], v[26:27] op_sel:[1,1] op_sel_hi:[0,1]
	s_waitcnt vmcnt(4)
	v_pk_mul_f32 v[102:103], v[36:37], v[54:55] op_sel:[1,0] op_sel_hi:[0,1]
	v_mov_b32_e32 v102, v39
	s_waitcnt vmcnt(2)
	v_mov_b32_e32 v108, v29
	v_pk_mul_f32 v[114:115], v[38:39], v[90:91]
	s_waitcnt vmcnt(0)
	v_mul_f32_e32 v63, v89, v51
	v_mov_b32_e32 v86, v43
	v_mov_b32_e32 v87, v42
	v_pk_mul_f32 v[100:101], v[36:37], v[54:55] op_sel:[1,1] op_sel_hi:[0,1]
	v_mul_f32_e32 v57, v67, v45
	v_mul_f32_e32 v112, v66, v45
	v_pk_mul_f32 v[120:121], v[32:33], v[92:93]
	v_mul_f32_e32 v114, v88, v51
	v_pk_mul_f32 v[132:133], v[102:103], v[90:91]
	v_pk_mul_f32 v[108:109], v[108:109], v[96:97]
	v_mov_b32_e32 v102, v103
	v_fma_f32 v88, v88, v50, -v63
	v_pk_fma_f32 v[128:129], v[40:41], v[26:27], v[128:129] neg_lo:[0,0,1] neg_hi:[0,0,1]
	v_fma_f32 v120, v66, v44, -v57
	v_fmac_f32_e32 v112, v67, v44
	v_pk_mul_f32 v[66:67], v[86:87], v[52:53] op_sel:[0,1]
	v_pk_fma_f32 v[100:101], v[36:37], v[54:55], v[100:101] neg_lo:[0,0,1] neg_hi:[0,0,1]
	v_pk_fma_f32 v[156:157], v[28:29], v[62:63], v[108:109] op_sel_hi:[1,0,1] neg_lo:[0,0,1] neg_hi:[0,0,1]
	v_pk_fma_f32 v[62:63], v[36:37], v[54:55], v[102:103] op_sel:[1,0,0] op_sel_hi:[0,1,1]
	v_pk_add_f32 v[54:55], v[128:129], v[88:89] neg_lo:[0,1] neg_hi:[0,1]
	v_pk_fma_f32 v[132:133], v[38:39], v[56:57], v[132:133] op_sel_hi:[1,0,1] neg_lo:[0,0,1] neg_hi:[0,0,1]
	v_pk_fma_f32 v[56:57], v[42:43], v[52:53], v[66:67] neg_lo:[0,0,1] neg_hi:[0,0,1]
	v_pk_add_f32 v[102:103], v[128:129], v[88:89]
	v_add_f32_e32 v55, v128, v24
	v_mov_b32_e32 v104, v33
	v_mov_b32_e32 v103, v54
	v_add_f32_e32 v54, v55, v56
	v_mov_b32_e32 v106, v35
	v_mul_f32_e32 v59, v69, v47
	v_pk_mul_f32 v[104:105], v[104:105], v[92:93]
	v_add_f32_e32 v54, v54, v100
	v_mul_f32_e32 v61, v71, v49
	v_pk_mul_f32 v[106:107], v[106:107], v[94:95]
	v_pk_fma_f32 v[154:155], v[32:33], v[58:59], v[104:105] op_sel_hi:[1,0,1] neg_lo:[0,0,1] neg_hi:[0,0,1]
	v_add_f32_e32 v54, v54, v132
	v_mov_b32_e32 v110, v31
	v_pk_fma_f32 v[106:107], v[34:35], v[60:61], v[106:107] op_sel_hi:[1,0,1] neg_lo:[0,0,1] neg_hi:[0,0,1]
	v_add_f32_e32 v54, v54, v154
	v_pk_mul_f32 v[110:111], v[110:111], v[98:99]
	v_add_f32_e32 v54, v54, v106
	v_pk_fma_f32 v[110:111], v[30:31], v[64:65], v[110:111] op_sel_hi:[1,0,1] neg_lo:[0,0,1] neg_hi:[0,0,1]
	v_add_f32_e32 v54, v54, v156
	v_add_f32_e32 v54, v54, v110
	v_mul_f32_e32 v116, v68, v47
	v_pk_mul_f32 v[130:131], v[40:41], v[26:27] op_sel:[1,0] op_sel_hi:[0,1]
	v_fma_f32 v68, v68, v46, -v59
	v_add_f32_e32 v54, v54, v120
	v_mul_f32_e32 v118, v70, v49
	v_pk_mul_f32 v[124:125], v[28:29], v[96:97]
	v_pk_mul_f32 v[134:135], v[86:87], v[52:53]
	v_fma_f32 v70, v70, v48, -v61
	v_mov_b32_e32 v136, v131
	v_add_f32_e32 v54, v54, v68
	v_mov_b32_e32 v124, v121
	v_mov_b32_e32 v58, v135
	v_pk_fma_f32 v[26:27], v[40:41], v[26:27], v[136:137] op_sel:[1,0,0] op_sel_hi:[0,1,1]
	v_add_f32_e32 v54, v54, v70
	v_pk_mul_f32 v[122:123], v[34:35], v[94:95]
	v_pk_fma_f32 v[92:93], v[32:33], v[92:93], v[124:125]
	v_pk_fma_f32 v[52:53], v[86:87], v[52:53], v[58:59]
	v_add_f32_e32 v124, v54, v88
	v_add_f32_e32 v54, v26, v25
	v_mov_b32_e32 v122, v115
	v_add_f32_e32 v54, v54, v52
	v_pk_mul_f32 v[126:127], v[30:31], v[98:99]
	v_pk_fma_f32 v[90:91], v[38:39], v[90:91], v[122:123]
	v_add_f32_e32 v54, v54, v62
	v_mov_b32_e32 v126, v123
	v_add_f32_e32 v54, v54, v90
	v_mov_b32_e32 v130, v125
	v_pk_fma_f32 v[122:123], v[34:35], v[94:95], v[126:127]
	v_add_f32_e32 v54, v54, v92
	v_mov_b32_e32 v134, v127
	v_pk_fma_f32 v[96:97], v[28:29], v[96:97], v[130:131]
	v_add_f32_e32 v54, v54, v122
	v_pk_fma_f32 v[94:95], v[30:31], v[98:99], v[134:135]
	v_add_f32_e32 v54, v54, v96
	v_add_f32_e32 v54, v54, v94
	v_fmac_f32_e32 v116, v69, v46
	v_add_f32_e32 v54, v54, v112
	v_fmac_f32_e32 v118, v71, v48
	;; [unrolled: 2-line block ×3, first 2 shown]
	v_add_f32_e32 v54, v54, v118
	v_add_f32_e32 v125, v54, v114
	v_pk_add_f32 v[104:105], v[26:27], v[114:115] neg_lo:[0,1] neg_hi:[0,1]
	v_pk_add_f32 v[26:27], v[26:27], v[114:115]
	v_pk_add_f32 v[108:109], v[56:57], v[70:71]
	v_pk_add_f32 v[54:55], v[56:57], v[70:71] neg_lo:[0,1] neg_hi:[0,1]
	v_mov_b32_e32 v27, v26
	v_mov_b32_e32 v109, v54
	;; [unrolled: 1-line block ×3, first 2 shown]
	v_pk_mul_f32 v[54:55], v[102:103], s[48:49]
	v_pk_add_f32 v[114:115], v[52:53], v[118:119] neg_lo:[0,1] neg_hi:[0,1]
	v_pk_add_f32 v[56:57], v[52:53], v[118:119]
	v_pk_fma_f32 v[58:59], v[104:105], s[4:5], v[54:55] neg_lo:[1,0,0] neg_hi:[1,0,0]
	v_pk_fma_f32 v[52:53], v[26:27], s[4:5], v[54:55]
	v_mov_b32_e32 v57, v56
	v_mov_b32_e32 v59, v53
	;; [unrolled: 1-line block ×3, first 2 shown]
	v_pk_mul_f32 v[60:61], v[108:109], s[26:27]
	v_pk_add_f32 v[64:65], v[58:59], v[24:25]
	v_pk_fma_f32 v[66:67], v[114:115], s[10:11], v[60:61] neg_lo:[1,0,0] neg_hi:[1,0,0]
	v_pk_fma_f32 v[58:59], v[56:57], s[10:11], v[60:61]
	v_pk_add_f32 v[134:135], v[100:101], v[68:69]
	v_mov_b32_e32 v67, v59
	v_pk_add_f32 v[70:71], v[66:67], v[64:65]
	v_pk_add_f32 v[64:65], v[100:101], v[68:69] neg_lo:[0,1] neg_hi:[0,1]
	v_pk_add_f32 v[136:137], v[62:63], v[116:117] neg_lo:[0,1] neg_hi:[0,1]
	v_mov_b32_e32 v135, v64
	v_pk_add_f32 v[62:63], v[62:63], v[116:117]
	v_pk_mul_f32 v[66:67], v[134:135], s[38:39]
	v_mov_b32_e32 v63, v62
	v_mov_b32_e32 v62, v136
	v_pk_fma_f32 v[68:69], v[136:137], s[12:13], v[66:67] neg_lo:[1,0,0] neg_hi:[1,0,0]
	v_pk_fma_f32 v[64:65], v[62:63], s[12:13], v[66:67]
	v_pk_add_f32 v[138:139], v[132:133], v[120:121]
	v_mov_b32_e32 v69, v65
	v_pk_add_f32 v[98:99], v[68:69], v[70:71]
	v_pk_add_f32 v[68:69], v[132:133], v[120:121] neg_lo:[0,1] neg_hi:[0,1]
	v_pk_add_f32 v[140:141], v[90:91], v[112:113] neg_lo:[0,1] neg_hi:[0,1]
	v_mov_b32_e32 v139, v68
	v_pk_add_f32 v[68:69], v[90:91], v[112:113]
	v_pk_mul_f32 v[88:89], v[138:139], s[28:29]
	v_mov_b32_e32 v69, v68
	v_mov_b32_e32 v68, v140
	;; [unrolled: 12-line block ×4, first 2 shown]
	v_lshrrev_b32_e32 v53, 2, v74
	v_pk_fma_f32 v[106:107], v[156:157], s[18:19], v[100:101] neg_lo:[1,0,0] neg_hi:[1,0,0]
	v_pk_fma_f32 v[98:99], v[96:97], s[18:19], v[100:101]
	v_mul_u32_u24_e32 v53, 52, v53
	v_mov_b32_e32 v107, v99
	v_or_b32_e32 v53, v53, v152
	v_pk_add_f32 v[106:107], v[106:107], v[110:111]
	v_lshl_add_u32 v153, v53, 3, 0
	v_pk_mul_f32 v[110:111], v[102:103], s[26:27]
	ds_write2_b64 v153, v[124:125], v[106:107] offset1:4
	v_pk_fma_f32 v[112:113], v[104:105], s[10:11], v[110:111] neg_lo:[1,0,0] neg_hi:[1,0,0]
	v_pk_fma_f32 v[106:107], v[26:27], s[10:11], v[110:111]
	v_pk_mul_f32 v[116:117], v[108:109], s[28:29]
	v_mov_b32_e32 v113, v107
	v_pk_add_f32 v[118:119], v[112:113], v[24:25]
	v_pk_fma_f32 v[120:121], v[114:115], s[14:15], v[116:117] neg_lo:[1,0,0] neg_hi:[1,0,0]
	v_pk_fma_f32 v[112:113], v[56:57], s[14:15], v[116:117]
	v_pk_mul_f32 v[170:171], v[108:109], s[36:37]
	v_mov_b32_e32 v121, v113
	v_pk_add_f32 v[122:123], v[120:121], v[118:119]
	v_pk_mul_f32 v[120:121], v[134:135], s[36:37]
	v_pk_fma_f32 v[172:173], v[114:115], s[18:19], v[170:171] neg_lo:[1,0,0] neg_hi:[1,0,0]
	v_pk_fma_f32 v[124:125], v[136:137], s[18:19], v[120:121] neg_lo:[1,0,0] neg_hi:[1,0,0]
	v_pk_fma_f32 v[118:119], v[62:63], s[18:19], v[120:121]
	v_pk_fma_f32 v[174:175], v[56:57], s[18:19], v[170:171]
	v_mov_b32_e32 v125, v119
	v_pk_add_f32 v[126:127], v[124:125], v[122:123]
	v_pk_mul_f32 v[124:125], v[138:139], s[50:51]
	v_mov_b32_e32 v173, v175
	v_pk_fma_f32 v[128:129], v[140:141], s[20:21], v[124:125] neg_lo:[1,0,0] neg_hi:[1,0,0]
	v_pk_fma_f32 v[122:123], v[68:69], s[20:21], v[124:125]
	v_pk_mul_f32 v[192:193], v[108:109], s[50:51]
	v_mov_b32_e32 v129, v123
	v_pk_add_f32 v[130:131], v[128:129], v[126:127]
	v_pk_mul_f32 v[128:129], v[158:159], s[44:45]
	v_pk_fma_f32 v[194:195], v[114:115], s[20:21], v[192:193] neg_lo:[1,0,0] neg_hi:[1,0,0]
	v_pk_fma_f32 v[132:133], v[154:155], s[22:23], v[128:129] neg_lo:[1,0,0] neg_hi:[1,0,0]
	v_pk_fma_f32 v[126:127], v[90:91], s[22:23], v[128:129]
	v_pk_fma_f32 v[196:197], v[56:57], s[20:21], v[192:193]
	v_mov_b32_e32 v133, v127
	v_pk_add_f32 v[162:163], v[132:133], v[130:131]
	v_pk_mul_f32 v[132:133], v[160:161], s[46:47]
	v_mov_b32_e32 v195, v197
	v_pk_fma_f32 v[164:165], v[156:157], s[24:25], v[132:133] neg_lo:[1,0,0] neg_hi:[1,0,0]
	v_pk_fma_f32 v[130:131], v[96:97], s[24:25], v[132:133]
	v_pk_mul_f32 v[218:219], v[108:109], s[44:45]
	v_mov_b32_e32 v165, v131
	v_pk_add_f32 v[162:163], v[164:165], v[162:163]
	v_pk_mul_f32 v[164:165], v[102:103], s[38:39]
	v_pk_fma_f32 v[220:221], v[114:115], s[22:23], v[218:219] neg_lo:[1,0,0] neg_hi:[1,0,0]
	v_pk_fma_f32 v[166:167], v[104:105], s[12:13], v[164:165] neg_lo:[1,0,0] neg_hi:[1,0,0]
	v_pk_fma_f32 v[168:169], v[26:27], s[12:13], v[164:165]
	v_pk_fma_f32 v[222:223], v[56:57], s[22:23], v[218:219]
	v_mov_b32_e32 v167, v169
	v_pk_add_f32 v[166:167], v[166:167], v[24:25]
	v_mov_b32_e32 v221, v223
	v_pk_add_f32 v[166:167], v[172:173], v[166:167]
	v_pk_mul_f32 v[172:173], v[134:135], s[56:57]
	v_pk_mul_f32 v[108:109], v[108:109], s[46:47]
	v_pk_fma_f32 v[176:177], v[136:137], s[30:31], v[172:173] neg_lo:[1,0,0] neg_hi:[1,0,0]
	v_pk_fma_f32 v[178:179], v[62:63], s[30:31], v[172:173]
	v_pk_fma_f32 v[114:115], v[114:115], s[24:25], v[108:109] neg_lo:[1,0,0] neg_hi:[1,0,0]
	v_mov_b32_e32 v177, v179
	v_pk_add_f32 v[166:167], v[176:177], v[166:167]
	v_pk_mul_f32 v[176:177], v[138:139], s[46:47]
	s_nop 0
	v_pk_fma_f32 v[180:181], v[140:141], s[24:25], v[176:177] neg_lo:[1,0,0] neg_hi:[1,0,0]
	v_pk_fma_f32 v[182:183], v[68:69], s[24:25], v[176:177]
	s_nop 0
	v_mov_b32_e32 v181, v183
	v_pk_add_f32 v[166:167], v[180:181], v[166:167]
	v_pk_mul_f32 v[180:181], v[158:159], s[26:27]
	s_nop 0
	v_pk_fma_f32 v[184:185], v[154:155], s[10:11], v[180:181] neg_lo:[1,0,0] neg_hi:[1,0,0]
	v_pk_fma_f32 v[186:187], v[90:91], s[10:11], v[180:181]
	s_nop 0
	;; [unrolled: 7-line block ×3, first 2 shown]
	v_mov_b32_e32 v189, v191
	v_pk_add_f32 v[166:167], v[188:189], v[166:167]
	ds_write2_b64 v153, v[162:163], v[166:167] offset0:8 offset1:12
	v_pk_mul_f32 v[162:163], v[102:103], s[28:29]
	s_nop 0
	v_pk_fma_f32 v[166:167], v[104:105], s[14:15], v[162:163] neg_lo:[1,0,0] neg_hi:[1,0,0]
	v_pk_fma_f32 v[188:189], v[26:27], s[14:15], v[162:163]
	s_nop 0
	v_mov_b32_e32 v167, v189
	v_pk_add_f32 v[166:167], v[166:167], v[24:25]
	s_nop 0
	v_pk_add_f32 v[166:167], v[194:195], v[166:167]
	v_pk_mul_f32 v[194:195], v[134:135], s[46:47]
	s_nop 0
	v_pk_fma_f32 v[198:199], v[136:137], s[24:25], v[194:195] neg_lo:[1,0,0] neg_hi:[1,0,0]
	v_pk_fma_f32 v[200:201], v[62:63], s[24:25], v[194:195]
	s_nop 0
	v_mov_b32_e32 v199, v201
	v_pk_add_f32 v[166:167], v[198:199], v[166:167]
	v_pk_mul_f32 v[198:199], v[138:139], s[38:39]
	s_nop 0
	v_pk_fma_f32 v[202:203], v[140:141], s[12:13], v[198:199] neg_lo:[1,0,0] neg_hi:[1,0,0]
	v_pk_fma_f32 v[204:205], v[68:69], s[12:13], v[198:199]
	s_nop 0
	v_mov_b32_e32 v203, v205
	;; [unrolled: 7-line block ×4, first 2 shown]
	v_pk_add_f32 v[166:167], v[210:211], v[166:167]
	v_pk_mul_f32 v[210:211], v[102:103], s[34:35]
	v_pk_mul_f32 v[102:103], v[102:103], s[36:37]
	v_pk_fma_f32 v[214:215], v[104:105], s[16:17], v[210:211] neg_lo:[1,0,0] neg_hi:[1,0,0]
	v_pk_fma_f32 v[216:217], v[26:27], s[16:17], v[210:211]
	v_pk_fma_f32 v[104:105], v[104:105], s[18:19], v[102:103] neg_lo:[1,0,0] neg_hi:[1,0,0]
	v_mov_b32_e32 v215, v217
	v_pk_add_f32 v[214:215], v[214:215], v[24:25]
	s_nop 0
	v_pk_add_f32 v[214:215], v[220:221], v[214:215]
	v_pk_mul_f32 v[220:221], v[134:135], s[26:27]
	s_nop 0
	v_pk_fma_f32 v[224:225], v[136:137], s[10:11], v[220:221] neg_lo:[1,0,0] neg_hi:[1,0,0]
	v_pk_fma_f32 v[226:227], v[62:63], s[10:11], v[220:221]
	s_nop 0
	v_mov_b32_e32 v225, v227
	v_pk_add_f32 v[214:215], v[224:225], v[214:215]
	v_pk_mul_f32 v[224:225], v[138:139], s[54:55]
	s_nop 0
	v_pk_fma_f32 v[228:229], v[140:141], s[40:41], v[224:225] neg_lo:[1,0,0] neg_hi:[1,0,0]
	v_pk_fma_f32 v[230:231], v[68:69], s[40:41], v[224:225]
	s_nop 0
	v_mov_b32_e32 v229, v231
	v_pk_add_f32 v[214:215], v[228:229], v[214:215]
	v_pk_mul_f32 v[228:229], v[158:159], s[46:47]
	s_nop 0
	v_pk_fma_f32 v[232:233], v[154:155], s[24:25], v[228:229] neg_lo:[1,0,0] neg_hi:[1,0,0]
	v_pk_fma_f32 v[234:235], v[90:91], s[24:25], v[228:229]
	s_nop 0
	v_mov_b32_e32 v233, v235
	v_pk_add_f32 v[214:215], v[232:233], v[214:215]
	v_pk_mul_f32 v[232:233], v[160:161], s[28:29]
	s_nop 0
	v_pk_fma_f32 v[236:237], v[156:157], s[14:15], v[232:233] neg_lo:[1,0,0] neg_hi:[1,0,0]
	v_pk_fma_f32 v[238:239], v[96:97], s[14:15], v[232:233]
	s_nop 0
	v_mov_b32_e32 v237, v239
	v_pk_add_f32 v[214:215], v[236:237], v[214:215]
	ds_write2_b64 v153, v[166:167], v[214:215] offset0:16 offset1:20
	v_pk_fma_f32 v[166:167], v[26:27], s[18:19], v[102:103]
	v_pk_fma_f32 v[214:215], v[56:57], s[24:25], v[108:109]
	v_mov_b32_e32 v105, v167
	v_pk_add_f32 v[104:105], v[104:105], v[24:25]
	v_mov_b32_e32 v115, v215
	v_pk_add_f32 v[104:105], v[114:115], v[104:105]
	v_pk_mul_f32 v[114:115], v[134:135], s[34:35]
	v_pk_fma_f32 v[102:103], v[26:27], s[18:19], v[102:103] neg_lo:[0,0,1] neg_hi:[0,0,1]
	v_pk_fma_f32 v[134:135], v[136:137], s[16:17], v[114:115] neg_lo:[1,0,0] neg_hi:[1,0,0]
	v_pk_fma_f32 v[136:137], v[62:63], s[16:17], v[114:115]
	v_mov_b32_e32 v167, v103
	v_mov_b32_e32 v135, v137
	v_pk_add_f32 v[104:105], v[134:135], v[104:105]
	v_pk_mul_f32 v[134:135], v[138:139], s[52:53]
	v_pk_fma_f32 v[102:103], v[56:57], s[24:25], v[108:109] neg_lo:[0,0,1] neg_hi:[0,0,1]
	v_pk_fma_f32 v[138:139], v[140:141], s[42:43], v[134:135] neg_lo:[1,0,0] neg_hi:[1,0,0]
	v_pk_fma_f32 v[140:141], v[68:69], s[42:43], v[134:135]
	v_mov_b32_e32 v215, v103
	v_mov_b32_e32 v139, v141
	v_pk_add_f32 v[104:105], v[138:139], v[104:105]
	v_pk_mul_f32 v[138:139], v[158:159], s[28:29]
	v_pk_add_f32 v[102:103], v[166:167], v[24:25]
	v_pk_fma_f32 v[154:155], v[154:155], s[14:15], v[138:139] neg_lo:[1,0,0] neg_hi:[1,0,0]
	v_pk_fma_f32 v[158:159], v[90:91], s[14:15], v[138:139]
	v_pk_fma_f32 v[108:109], v[62:63], s[16:17], v[114:115] neg_lo:[0,0,1] neg_hi:[0,0,1]
	v_mov_b32_e32 v155, v159
	v_pk_add_f32 v[102:103], v[214:215], v[102:103]
	v_mov_b32_e32 v137, v109
	v_pk_fma_f32 v[108:109], v[68:69], s[42:43], v[134:135] neg_lo:[0,0,1] neg_hi:[0,0,1]
	v_pk_add_f32 v[104:105], v[154:155], v[104:105]
	v_pk_mul_f32 v[154:155], v[160:161], s[44:45]
	v_pk_add_f32 v[102:103], v[136:137], v[102:103]
	v_mov_b32_e32 v141, v109
	v_pk_fma_f32 v[108:109], v[90:91], s[14:15], v[138:139] neg_lo:[0,0,1] neg_hi:[0,0,1]
	v_pk_fma_f32 v[156:157], v[156:157], s[22:23], v[154:155] neg_lo:[1,0,0] neg_hi:[1,0,0]
	v_pk_fma_f32 v[160:161], v[96:97], s[22:23], v[154:155]
	v_pk_add_f32 v[102:103], v[140:141], v[102:103]
	v_mov_b32_e32 v159, v109
	v_pk_fma_f32 v[108:109], v[96:97], s[22:23], v[154:155] neg_lo:[0,0,1] neg_hi:[0,0,1]
	v_mov_b32_e32 v157, v161
	v_pk_add_f32 v[102:103], v[158:159], v[102:103]
	v_mov_b32_e32 v161, v109
	v_pk_add_f32 v[104:105], v[156:157], v[104:105]
	v_pk_add_f32 v[102:103], v[160:161], v[102:103]
	ds_write2_b64 v153, v[104:105], v[102:103] offset0:24 offset1:28
	v_pk_fma_f32 v[104:105], v[62:63], s[10:11], v[220:221] neg_lo:[0,0,1] neg_hi:[0,0,1]
	v_pk_fma_f32 v[102:103], v[26:27], s[16:17], v[210:211] neg_lo:[0,0,1] neg_hi:[0,0,1]
	v_mov_b32_e32 v227, v105
	v_pk_fma_f32 v[104:105], v[68:69], s[40:41], v[224:225] neg_lo:[0,0,1] neg_hi:[0,0,1]
	v_mov_b32_e32 v217, v103
	v_mov_b32_e32 v231, v105
	v_pk_fma_f32 v[104:105], v[90:91], s[24:25], v[228:229] neg_lo:[0,0,1] neg_hi:[0,0,1]
	v_pk_fma_f32 v[102:103], v[56:57], s[22:23], v[218:219] neg_lo:[0,0,1] neg_hi:[0,0,1]
	v_mov_b32_e32 v235, v105
	v_pk_fma_f32 v[104:105], v[96:97], s[14:15], v[232:233] neg_lo:[0,0,1] neg_hi:[0,0,1]
	v_mov_b32_e32 v223, v103
	v_mov_b32_e32 v239, v105
	v_pk_fma_f32 v[104:105], v[26:27], s[14:15], v[162:163] neg_lo:[0,0,1] neg_hi:[0,0,1]
	v_pk_add_f32 v[102:103], v[216:217], v[24:25]
	v_mov_b32_e32 v189, v105
	v_pk_fma_f32 v[104:105], v[56:57], s[20:21], v[192:193] neg_lo:[0,0,1] neg_hi:[0,0,1]
	v_pk_fma_f32 v[108:109], v[62:63], s[24:25], v[194:195] neg_lo:[0,0,1] neg_hi:[0,0,1]
	v_mov_b32_e32 v197, v105
	v_pk_add_f32 v[104:105], v[188:189], v[24:25]
	v_pk_add_f32 v[102:103], v[222:223], v[102:103]
	;; [unrolled: 1-line block ×3, first 2 shown]
	v_mov_b32_e32 v201, v109
	v_pk_fma_f32 v[108:109], v[68:69], s[12:13], v[198:199] neg_lo:[0,0,1] neg_hi:[0,0,1]
	v_pk_add_f32 v[102:103], v[226:227], v[102:103]
	v_pk_add_f32 v[104:105], v[200:201], v[104:105]
	v_mov_b32_e32 v205, v109
	v_pk_fma_f32 v[108:109], v[90:91], s[40:41], v[202:203] neg_lo:[0,0,1] neg_hi:[0,0,1]
	v_pk_add_f32 v[102:103], v[230:231], v[102:103]
	v_pk_add_f32 v[104:105], v[204:205], v[104:105]
	v_mov_b32_e32 v209, v109
	v_pk_fma_f32 v[108:109], v[96:97], s[42:43], v[206:207] neg_lo:[0,0,1] neg_hi:[0,0,1]
	v_pk_add_f32 v[102:103], v[234:235], v[102:103]
	v_pk_add_f32 v[104:105], v[208:209], v[104:105]
	v_mov_b32_e32 v213, v109
	v_pk_add_f32 v[102:103], v[238:239], v[102:103]
	v_pk_add_f32 v[104:105], v[212:213], v[104:105]
	ds_write2_b64 v153, v[102:103], v[104:105] offset0:32 offset1:36
	v_pk_fma_f32 v[104:105], v[62:63], s[30:31], v[172:173] neg_lo:[0,0,1] neg_hi:[0,0,1]
	v_pk_fma_f32 v[102:103], v[26:27], s[12:13], v[164:165] neg_lo:[0,0,1] neg_hi:[0,0,1]
	v_mov_b32_e32 v179, v105
	v_pk_fma_f32 v[104:105], v[68:69], s[24:25], v[176:177] neg_lo:[0,0,1] neg_hi:[0,0,1]
	v_mov_b32_e32 v169, v103
	v_mov_b32_e32 v183, v105
	v_pk_fma_f32 v[104:105], v[90:91], s[10:11], v[180:181] neg_lo:[0,0,1] neg_hi:[0,0,1]
	v_pk_fma_f32 v[102:103], v[56:57], s[18:19], v[170:171] neg_lo:[0,0,1] neg_hi:[0,0,1]
	v_mov_b32_e32 v187, v105
	v_pk_fma_f32 v[104:105], v[96:97], s[16:17], v[184:185] neg_lo:[0,0,1] neg_hi:[0,0,1]
	v_mov_b32_e32 v175, v103
	v_mov_b32_e32 v191, v105
	v_pk_fma_f32 v[104:105], v[26:27], s[10:11], v[110:111] neg_lo:[0,0,1] neg_hi:[0,0,1]
	v_pk_fma_f32 v[26:27], v[26:27], s[4:5], v[54:55] neg_lo:[0,0,1] neg_hi:[0,0,1]
	v_mov_b32_e32 v107, v105
	v_pk_fma_f32 v[104:105], v[56:57], s[14:15], v[116:117] neg_lo:[0,0,1] neg_hi:[0,0,1]
	v_mov_b32_e32 v53, v27
	v_pk_fma_f32 v[26:27], v[56:57], s[10:11], v[60:61] neg_lo:[0,0,1] neg_hi:[0,0,1]
	v_pk_add_f32 v[102:103], v[168:169], v[24:25]
	v_mov_b32_e32 v113, v105
	v_pk_add_f32 v[104:105], v[106:107], v[24:25]
	v_pk_fma_f32 v[106:107], v[62:63], s[18:19], v[120:121] neg_lo:[0,0,1] neg_hi:[0,0,1]
	v_pk_add_f32 v[24:25], v[52:53], v[24:25]
	v_mov_b32_e32 v59, v27
	v_pk_fma_f32 v[26:27], v[62:63], s[12:13], v[66:67] neg_lo:[0,0,1] neg_hi:[0,0,1]
	v_pk_add_f32 v[102:103], v[174:175], v[102:103]
	v_pk_add_f32 v[104:105], v[112:113], v[104:105]
	v_mov_b32_e32 v119, v107
	v_pk_fma_f32 v[106:107], v[68:69], s[20:21], v[124:125] neg_lo:[0,0,1] neg_hi:[0,0,1]
	v_pk_add_f32 v[24:25], v[58:59], v[24:25]
	v_mov_b32_e32 v65, v27
	v_pk_fma_f32 v[26:27], v[68:69], s[14:15], v[88:89] neg_lo:[0,0,1] neg_hi:[0,0,1]
	v_pk_add_f32 v[102:103], v[178:179], v[102:103]
	v_pk_add_f32 v[104:105], v[118:119], v[104:105]
	v_mov_b32_e32 v123, v107
	;; [unrolled: 7-line block ×4, first 2 shown]
	v_pk_add_f32 v[24:25], v[92:93], v[24:25]
	v_mov_b32_e32 v99, v27
	v_pk_add_f32 v[102:103], v[190:191], v[102:103]
	v_pk_add_f32 v[104:105], v[130:131], v[104:105]
	;; [unrolled: 1-line block ×3, first 2 shown]
	ds_write2_b64 v153, v[102:103], v[104:105] offset0:40 offset1:44
	ds_write_b64 v153, v[24:25] offset:384
	s_and_saveexec_b64 s[58:59], vcc
	s_cbranch_execz .LBB0_23
; %bb.22:
	v_mov_b32_e32 v24, v41
	v_mov_b32_e32 v25, v40
	v_pk_mul_f32 v[54:55], v[2:3], v[24:25]
	v_mov_b32_e32 v56, v3
	v_mov_b32_e32 v54, v55
	v_pk_fma_f32 v[54:55], v[2:3], v[24:25], v[54:55]
	v_pk_mul_f32 v[24:25], v[56:57], v[24:25]
	v_mov_b32_e32 v26, v37
	v_pk_fma_f32 v[24:25], v[2:3], v[40:41], v[24:25] neg_lo:[0,0,1] neg_hi:[0,0,1]
	v_mov_b32_e32 v2, v19
	v_pk_mul_f32 v[40:41], v[2:3], v[48:49] op_sel_hi:[0,1]
	v_pk_mul_f32 v[2:3], v[20:21], v[86:87]
	v_mov_b32_e32 v27, v36
	v_mov_b32_e32 v2, v3
	v_pk_fma_f32 v[56:57], v[20:21], v[86:87], v[2:3]
	v_mov_b32_e32 v2, v21
	v_pk_mul_f32 v[2:3], v[2:3], v[86:87]
	v_pk_fma_f32 v[88:89], v[18:19], v[48:49], v[40:41] op_sel:[0,0,1] op_sel_hi:[0,1,0] neg_lo:[0,0,1] neg_hi:[0,0,1]
	v_pk_fma_f32 v[20:21], v[20:21], v[42:43], v[2:3] neg_lo:[0,0,1] neg_hi:[0,0,1]
	v_mov_b32_e32 v2, v17
	v_pk_mul_f32 v[42:43], v[2:3], v[46:47] op_sel_hi:[0,1]
	v_pk_mul_f32 v[2:3], v[22:23], v[26:27]
	v_pk_fma_f32 v[40:41], v[18:19], v[48:49], v[40:41] op_sel:[0,0,1] op_sel_hi:[0,1,0]
	v_mov_b32_e32 v2, v3
	v_pk_fma_f32 v[58:59], v[22:23], v[26:27], v[2:3]
	v_mov_b32_e32 v2, v23
	v_pk_mul_f32 v[2:3], v[2:3], v[26:27]
	v_pk_add_f32 v[70:71], v[0:1], v[24:25]
	v_pk_fma_f32 v[22:23], v[22:23], v[36:37], v[2:3] neg_lo:[0,0,1] neg_hi:[0,0,1]
	v_mov_b32_e32 v2, v15
	v_pk_mul_f32 v[26:27], v[2:3], v[44:45] op_sel_hi:[0,1]
	v_mov_b32_e32 v2, v13
	v_pk_mul_f32 v[60:61], v[2:3], v[30:31] op_sel_hi:[0,1]
	;; [unrolled: 2-line block ×3, first 2 shown]
	v_mov_b32_e32 v2, v7
	v_pk_mul_f32 v[36:37], v[8:9], v[38:39] op_sel:[1,0]
	v_pk_mul_f32 v[64:65], v[2:3], v[28:29] op_sel_hi:[0,1]
	v_mov_b32_e32 v2, v5
	v_pk_mul_f32 v[66:67], v[2:3], v[34:35] op_sel_hi:[0,1]
	v_mov_b32_e32 v3, v54
	v_mov_b32_e32 v5, v56
	v_pk_fma_f32 v[96:97], v[8:9], v[38:39], v[36:37] op_sel:[0,0,1] op_sel_hi:[1,1,0] neg_lo:[0,0,1] neg_hi:[0,0,1]
	v_pk_fma_f32 v[8:9], v[8:9], v[38:39], v[36:37] op_sel:[0,0,1] op_sel_hi:[0,1,0]
	v_pk_add_f32 v[68:69], v[0:1], v[2:3]
	v_pk_add_f32 v[18:19], v[4:5], v[40:41]
	v_pk_fma_f32 v[92:93], v[16:17], v[46:47], v[42:43] op_sel:[0,0,1] op_sel_hi:[0,1,0] neg_lo:[0,0,1] neg_hi:[0,0,1]
	v_pk_fma_f32 v[42:43], v[16:17], v[46:47], v[42:43] op_sel:[0,0,1] op_sel_hi:[0,1,0]
	v_mov_b32_e32 v5, v58
	v_mov_b32_e32 v97, v9
	v_pk_fma_f32 v[36:37], v[14:15], v[44:45], v[26:27] op_sel:[0,0,1] op_sel_hi:[1,1,0] neg_lo:[0,0,1] neg_hi:[0,0,1]
	v_pk_fma_f32 v[8:9], v[14:15], v[44:45], v[26:27] op_sel:[0,0,1] op_sel_hi:[0,1,0]
	v_pk_fma_f32 v[14:15], v[10:11], v[32:33], v[62:63] op_sel:[0,0,1] op_sel_hi:[1,1,0] neg_lo:[0,0,1] neg_hi:[0,0,1]
	v_pk_fma_f32 v[10:11], v[10:11], v[32:33], v[62:63] op_sel:[0,0,1] op_sel_hi:[0,1,0]
	v_pk_add_f32 v[90:91], v[20:21], v[88:89] neg_lo:[0,1] neg_hi:[0,1]
	v_pk_add_f32 v[16:17], v[4:5], v[42:43]
	v_mov_b32_e32 v15, v11
	v_pk_fma_f32 v[26:27], v[12:13], v[30:31], v[60:61] op_sel:[0,0,1] op_sel_hi:[1,1,0] neg_lo:[0,0,1] neg_hi:[0,0,1]
	v_pk_fma_f32 v[10:11], v[12:13], v[30:31], v[60:61] op_sel:[0,0,1] op_sel_hi:[0,1,0]
	v_pk_fma_f32 v[12:13], v[4:5], v[34:35], v[66:67] op_sel:[0,0,1] op_sel_hi:[1,1,0] neg_lo:[0,0,1] neg_hi:[0,0,1]
	v_pk_fma_f32 v[4:5], v[4:5], v[34:35], v[66:67] op_sel:[0,0,1] op_sel_hi:[0,1,0]
	v_pk_add_f32 v[66:67], v[20:21], v[88:89]
	v_mov_b32_e32 v71, v69
	v_mov_b32_e32 v21, v56
	;; [unrolled: 1-line block ×3, first 2 shown]
	v_pk_add_f32 v[94:95], v[22:23], v[92:93] neg_lo:[0,1] neg_hi:[0,1]
	v_mov_b32_e32 v13, v5
	v_pk_fma_f32 v[30:31], v[6:7], v[28:29], v[64:65] op_sel:[0,0,1] op_sel_hi:[1,1,0] neg_lo:[0,0,1] neg_hi:[0,0,1]
	v_pk_fma_f32 v[4:5], v[6:7], v[28:29], v[64:65] op_sel:[0,0,1] op_sel_hi:[0,1,0]
	v_pk_add_f32 v[88:89], v[22:23], v[92:93]
	v_pk_add_f32 v[6:7], v[70:71], v[20:21]
	v_mov_b32_e32 v23, v58
	v_pk_add_f32 v[6:7], v[6:7], v[22:23]
	v_mov_b32_e32 v52, v85
	v_pk_add_f32 v[6:7], v[6:7], v[96:97]
	v_lshrrev_b32_e32 v2, 2, v151
	v_pk_add_f32 v[6:7], v[6:7], v[14:15]
	v_pk_mul_f32 v[52:53], v[52:53], v[50:51] op_sel_hi:[0,1]
	v_mul_u32_u24_e32 v2, 52, v2
	v_mov_b32_e32 v31, v5
	v_pk_add_f32 v[6:7], v[6:7], v[12:13]
	v_or_b32_e32 v2, v2, v152
	v_pk_fma_f32 v[86:87], v[84:85], v[50:51], v[52:53] op_sel:[0,0,1] op_sel_hi:[0,1,0] neg_lo:[0,0,1] neg_hi:[0,0,1]
	v_pk_fma_f32 v[50:51], v[84:85], v[50:51], v[52:53] op_sel:[0,0,1] op_sel_hi:[0,1,0]
	v_mov_b32_e32 v27, v11
	v_pk_add_f32 v[6:7], v[6:7], v[30:31]
	v_lshl_add_u32 v151, v2, 3, 0
	v_pk_add_f32 v[2:3], v[2:3], v[50:51]
	v_mov_b32_e32 v37, v9
	v_pk_add_f32 v[6:7], v[6:7], v[26:27]
	v_mov_b32_e32 v46, v92
	v_mov_b32_e32 v47, v43
	;; [unrolled: 1-line block ×3, first 2 shown]
	v_pk_add_f32 v[6:7], v[6:7], v[36:37]
	v_pk_add_f32 v[84:85], v[24:25], v[86:87] neg_lo:[0,1] neg_hi:[0,1]
	v_mov_b32_e32 v49, v41
	v_pk_add_f32 v[62:63], v[24:25], v[86:87]
	v_pk_add_f32 v[64:65], v[54:55], v[2:3] neg_lo:[0,1] neg_hi:[0,1]
	v_mov_b32_e32 v2, v41
	v_pk_add_f32 v[6:7], v[6:7], v[46:47]
	v_mov_b32_e32 v52, v86
	v_mov_b32_e32 v53, v51
	v_pk_add_f32 v[86:87], v[56:57], v[2:3] neg_lo:[0,1] neg_hi:[0,1]
	v_mov_b32_e32 v2, v43
	v_pk_add_f32 v[6:7], v[6:7], v[48:49]
	v_mov_b32_e32 v63, v84
	v_pk_add_f32 v[92:93], v[58:59], v[2:3] neg_lo:[0,1] neg_hi:[0,1]
	v_pk_add_f32 v[40:41], v[6:7], v[52:53]
	v_pk_mul_f32 v[6:7], v[62:63], s[48:49]
	v_mov_b32_e32 v2, v64
	v_pk_add_f32 v[10:11], v[14:15], v[26:27]
	v_pk_add_f32 v[32:33], v[14:15], v[26:27] neg_lo:[0,1] neg_hi:[0,1]
	v_pk_add_f32 v[4:5], v[12:13], v[30:31]
	v_pk_add_f32 v[44:45], v[12:13], v[30:31] neg_lo:[0,1] neg_hi:[0,1]
	v_pk_fma_f32 v[14:15], v[64:65], s[4:5], v[6:7] neg_lo:[1,0,0] neg_hi:[1,0,0]
	v_pk_fma_f32 v[12:13], v[2:3], s[4:5], v[6:7]
	v_mov_b32_e32 v67, v90
	v_mov_b32_e32 v15, v13
	v_pk_add_f32 v[22:23], v[0:1], v[14:15]
	v_pk_mul_f32 v[14:15], v[66:67], s[26:27]
	v_mov_b32_e32 v18, v86
	v_pk_fma_f32 v[24:25], v[86:87], s[10:11], v[14:15] neg_lo:[1,0,0] neg_hi:[1,0,0]
	v_pk_fma_f32 v[20:21], v[18:19], s[10:11], v[14:15]
	v_mov_b32_e32 v89, v94
	v_mov_b32_e32 v25, v21
	v_pk_add_f32 v[26:27], v[24:25], v[22:23]
	v_pk_mul_f32 v[22:23], v[88:89], s[38:39]
	v_mov_b32_e32 v16, v92
	v_pk_add_f32 v[8:9], v[96:97], v[36:37]
	v_pk_add_f32 v[38:39], v[96:97], v[36:37] neg_lo:[0,1] neg_hi:[0,1]
	v_pk_fma_f32 v[28:29], v[92:93], s[12:13], v[22:23] neg_lo:[1,0,0] neg_hi:[1,0,0]
	v_pk_fma_f32 v[24:25], v[16:17], s[12:13], v[22:23]
	v_mov_b32_e32 v68, v8
	v_mov_b32_e32 v29, v25
	v_mov_b32_e32 v69, v38
	v_pk_add_f32 v[30:31], v[28:29], v[26:27]
	v_pk_mul_f32 v[26:27], v[68:69], s[28:29]
	v_mov_b32_e32 v8, v39
	v_pk_fma_f32 v[34:35], v[8:9], s[14:15], v[26:27] neg_lo:[1,0,0] neg_hi:[1,0,0]
	v_pk_fma_f32 v[28:29], v[8:9], s[14:15], v[26:27]
	v_mov_b32_e32 v70, v10
	v_mov_b32_e32 v35, v29
	v_mov_b32_e32 v71, v32
	v_pk_add_f32 v[34:35], v[34:35], v[30:31]
	v_pk_mul_f32 v[30:31], v[70:71], s[34:35]
	v_mov_b32_e32 v10, v33
	;; [unrolled: 8-line block ×3, first 2 shown]
	v_pk_fma_f32 v[42:43], v[4:5], s[18:19], v[34:35] neg_lo:[1,0,0] neg_hi:[1,0,0]
	v_pk_fma_f32 v[36:37], v[4:5], s[18:19], v[34:35]
	v_pk_mul_f32 v[44:45], v[66:67], s[28:29]
	v_mov_b32_e32 v43, v37
	v_pk_add_f32 v[38:39], v[42:43], v[38:39]
	ds_write2_b64 v151, v[40:41], v[38:39] offset1:4
	v_pk_mul_f32 v[40:41], v[62:63], s[26:27]
	v_pk_fma_f32 v[48:49], v[86:87], s[14:15], v[44:45] neg_lo:[1,0,0] neg_hi:[1,0,0]
	v_pk_fma_f32 v[42:43], v[64:65], s[10:11], v[40:41] neg_lo:[1,0,0] neg_hi:[1,0,0]
	v_pk_fma_f32 v[38:39], v[2:3], s[10:11], v[40:41]
	v_pk_mul_f32 v[100:101], v[66:67], s[36:37]
	v_mov_b32_e32 v43, v39
	v_pk_add_f32 v[46:47], v[0:1], v[42:43]
	v_pk_fma_f32 v[42:43], v[18:19], s[14:15], v[44:45]
	v_pk_fma_f32 v[102:103], v[86:87], s[18:19], v[100:101] neg_lo:[1,0,0] neg_hi:[1,0,0]
	v_mov_b32_e32 v49, v43
	v_pk_add_f32 v[50:51], v[48:49], v[46:47]
	v_pk_mul_f32 v[48:49], v[88:89], s[36:37]
	v_pk_fma_f32 v[104:105], v[18:19], s[18:19], v[100:101]
	v_pk_fma_f32 v[52:53], v[92:93], s[18:19], v[48:49] neg_lo:[1,0,0] neg_hi:[1,0,0]
	v_pk_fma_f32 v[46:47], v[16:17], s[18:19], v[48:49]
	v_mov_b32_e32 v103, v105
	v_mov_b32_e32 v53, v47
	v_pk_add_f32 v[54:55], v[52:53], v[50:51]
	v_pk_mul_f32 v[52:53], v[68:69], s[50:51]
	v_pk_mul_f32 v[122:123], v[68:69], s[38:39]
	v_pk_fma_f32 v[56:57], v[8:9], s[20:21], v[52:53] neg_lo:[1,0,0] neg_hi:[1,0,0]
	v_pk_fma_f32 v[50:51], v[8:9], s[20:21], v[52:53]
	v_pk_fma_f32 v[138:139], v[8:9], s[12:13], v[122:123]
	v_mov_b32_e32 v57, v51
	v_pk_add_f32 v[58:59], v[56:57], v[54:55]
	v_pk_mul_f32 v[56:57], v[70:71], s[44:45]
	v_pk_mul_f32 v[124:125], v[70:71], s[54:55]
	v_pk_fma_f32 v[60:61], v[10:11], s[22:23], v[56:57] neg_lo:[1,0,0] neg_hi:[1,0,0]
	v_pk_fma_f32 v[54:55], v[10:11], s[22:23], v[56:57]
	v_pk_fma_f32 v[140:141], v[10:11], s[40:41], v[124:125]
	;; [unrolled: 7-line block ×3, first 2 shown]
	v_mov_b32_e32 v95, v59
	v_pk_add_f32 v[90:91], v[94:95], v[90:91]
	v_pk_mul_f32 v[94:95], v[62:63], s[38:39]
	v_pk_mul_f32 v[158:159], v[66:67], s[44:45]
	v_pk_fma_f32 v[96:97], v[64:65], s[12:13], v[94:95] neg_lo:[1,0,0] neg_hi:[1,0,0]
	v_pk_fma_f32 v[98:99], v[2:3], s[12:13], v[94:95]
	v_pk_fma_f32 v[160:161], v[86:87], s[22:23], v[158:159] neg_lo:[1,0,0] neg_hi:[1,0,0]
	v_mov_b32_e32 v97, v99
	v_pk_add_f32 v[96:97], v[0:1], v[96:97]
	v_pk_fma_f32 v[162:163], v[18:19], s[22:23], v[158:159]
	v_pk_add_f32 v[96:97], v[102:103], v[96:97]
	v_pk_mul_f32 v[102:103], v[88:89], s[56:57]
	v_mov_b32_e32 v161, v163
	v_pk_fma_f32 v[106:107], v[92:93], s[30:31], v[102:103] neg_lo:[1,0,0] neg_hi:[1,0,0]
	v_pk_fma_f32 v[108:109], v[16:17], s[30:31], v[102:103]
	v_pk_fma_f32 v[40:41], v[2:3], s[10:11], v[40:41] neg_lo:[0,0,1] neg_hi:[0,0,1]
	v_mov_b32_e32 v107, v109
	v_pk_add_f32 v[96:97], v[106:107], v[96:97]
	v_pk_mul_f32 v[106:107], v[68:69], s[46:47]
	v_mov_b32_e32 v39, v41
	v_pk_fma_f32 v[110:111], v[8:9], s[24:25], v[106:107] neg_lo:[1,0,0] neg_hi:[1,0,0]
	v_pk_fma_f32 v[112:113], v[8:9], s[24:25], v[106:107]
	v_pk_fma_f32 v[40:41], v[18:19], s[14:15], v[44:45] neg_lo:[0,0,1] neg_hi:[0,0,1]
	v_mov_b32_e32 v111, v113
	v_pk_add_f32 v[96:97], v[110:111], v[96:97]
	v_pk_mul_f32 v[110:111], v[70:71], s[26:27]
	v_pk_add_f32 v[38:39], v[0:1], v[38:39]
	v_pk_fma_f32 v[114:115], v[10:11], s[10:11], v[110:111] neg_lo:[1,0,0] neg_hi:[1,0,0]
	v_pk_fma_f32 v[116:117], v[10:11], s[10:11], v[110:111]
	v_mov_b32_e32 v43, v41
	v_mov_b32_e32 v115, v117
	v_pk_add_f32 v[96:97], v[114:115], v[96:97]
	v_pk_mul_f32 v[114:115], v[84:85], s[34:35]
	v_pk_fma_f32 v[40:41], v[16:17], s[18:19], v[48:49] neg_lo:[0,0,1] neg_hi:[0,0,1]
	v_pk_fma_f32 v[118:119], v[4:5], s[16:17], v[114:115] neg_lo:[1,0,0] neg_hi:[1,0,0]
	v_pk_fma_f32 v[120:121], v[4:5], s[16:17], v[114:115]
	v_pk_add_f32 v[38:39], v[42:43], v[38:39]
	v_mov_b32_e32 v119, v121
	v_pk_add_f32 v[96:97], v[118:119], v[96:97]
	ds_write2_b64 v151, v[90:91], v[96:97] offset0:8 offset1:12
	v_pk_mul_f32 v[90:91], v[62:63], s[28:29]
	v_pk_mul_f32 v[96:97], v[66:67], s[50:51]
	v_pk_fma_f32 v[128:129], v[64:65], s[14:15], v[90:91] neg_lo:[1,0,0] neg_hi:[1,0,0]
	v_pk_fma_f32 v[130:131], v[2:3], s[14:15], v[90:91]
	v_pk_fma_f32 v[132:133], v[86:87], s[20:21], v[96:97] neg_lo:[1,0,0] neg_hi:[1,0,0]
	v_mov_b32_e32 v129, v131
	v_pk_fma_f32 v[134:135], v[18:19], s[20:21], v[96:97]
	v_pk_mul_f32 v[118:119], v[88:89], s[46:47]
	v_pk_add_f32 v[128:129], v[0:1], v[128:129]
	v_mov_b32_e32 v133, v135
	v_pk_add_f32 v[128:129], v[132:133], v[128:129]
	v_pk_fma_f32 v[132:133], v[92:93], s[24:25], v[118:119] neg_lo:[1,0,0] neg_hi:[1,0,0]
	v_pk_fma_f32 v[136:137], v[16:17], s[24:25], v[118:119]
	v_pk_mul_f32 v[66:67], v[66:67], s[46:47]
	v_mov_b32_e32 v133, v137
	v_pk_add_f32 v[128:129], v[132:133], v[128:129]
	v_pk_fma_f32 v[132:133], v[8:9], s[12:13], v[122:123] neg_lo:[1,0,0] neg_hi:[1,0,0]
	v_pk_fma_f32 v[86:87], v[86:87], s[24:25], v[66:67] neg_lo:[1,0,0] neg_hi:[1,0,0]
	v_mov_b32_e32 v133, v139
	v_pk_add_f32 v[128:129], v[132:133], v[128:129]
	v_pk_fma_f32 v[132:133], v[10:11], s[40:41], v[124:125] neg_lo:[1,0,0] neg_hi:[1,0,0]
	v_mov_b32_e32 v47, v41
	v_mov_b32_e32 v133, v141
	v_pk_add_f32 v[128:129], v[132:133], v[128:129]
	v_pk_fma_f32 v[132:133], v[4:5], s[42:43], v[126:127] neg_lo:[1,0,0] neg_hi:[1,0,0]
	v_pk_fma_f32 v[40:41], v[8:9], s[20:21], v[52:53] neg_lo:[0,0,1] neg_hi:[0,0,1]
	v_mov_b32_e32 v133, v153
	v_pk_add_f32 v[128:129], v[132:133], v[128:129]
	v_pk_mul_f32 v[132:133], v[62:63], s[34:35]
	v_pk_mul_f32 v[62:63], v[62:63], s[36:37]
	v_pk_fma_f32 v[154:155], v[64:65], s[16:17], v[132:133] neg_lo:[1,0,0] neg_hi:[1,0,0]
	v_pk_fma_f32 v[156:157], v[2:3], s[16:17], v[132:133]
	v_pk_fma_f32 v[64:65], v[64:65], s[18:19], v[62:63] neg_lo:[1,0,0] neg_hi:[1,0,0]
	v_mov_b32_e32 v155, v157
	v_pk_add_f32 v[154:155], v[0:1], v[154:155]
	v_pk_add_f32 v[38:39], v[46:47], v[38:39]
	;; [unrolled: 1-line block ×3, first 2 shown]
	v_pk_mul_f32 v[160:161], v[88:89], s[26:27]
	v_pk_mul_f32 v[88:89], v[88:89], s[34:35]
	v_pk_fma_f32 v[164:165], v[92:93], s[10:11], v[160:161] neg_lo:[1,0,0] neg_hi:[1,0,0]
	v_pk_fma_f32 v[166:167], v[16:17], s[10:11], v[160:161]
	v_mov_b32_e32 v51, v41
	v_mov_b32_e32 v165, v167
	v_pk_add_f32 v[154:155], v[164:165], v[154:155]
	v_pk_mul_f32 v[164:165], v[68:69], s[54:55]
	v_pk_mul_f32 v[68:69], v[68:69], s[52:53]
	v_pk_fma_f32 v[168:169], v[8:9], s[40:41], v[164:165] neg_lo:[1,0,0] neg_hi:[1,0,0]
	v_pk_fma_f32 v[170:171], v[8:9], s[40:41], v[164:165]
	v_pk_fma_f32 v[40:41], v[10:11], s[22:23], v[56:57] neg_lo:[0,0,1] neg_hi:[0,0,1]
	v_mov_b32_e32 v169, v171
	v_pk_add_f32 v[154:155], v[168:169], v[154:155]
	v_pk_mul_f32 v[168:169], v[70:71], s[46:47]
	v_pk_mul_f32 v[70:71], v[70:71], s[28:29]
	v_pk_fma_f32 v[172:173], v[10:11], s[24:25], v[168:169] neg_lo:[1,0,0] neg_hi:[1,0,0]
	v_pk_fma_f32 v[174:175], v[10:11], s[24:25], v[168:169]
	v_pk_fma_f32 v[180:181], v[10:11], s[14:15], v[70:71]
	v_mov_b32_e32 v173, v175
	v_pk_add_f32 v[154:155], v[172:173], v[154:155]
	v_pk_mul_f32 v[172:173], v[84:85], s[28:29]
	v_pk_mul_f32 v[84:85], v[84:85], s[44:45]
	v_pk_fma_f32 v[176:177], v[4:5], s[14:15], v[172:173] neg_lo:[1,0,0] neg_hi:[1,0,0]
	v_pk_fma_f32 v[178:179], v[4:5], s[14:15], v[172:173]
	v_pk_fma_f32 v[182:183], v[4:5], s[22:23], v[84:85]
	v_mov_b32_e32 v177, v179
	v_pk_add_f32 v[154:155], v[176:177], v[154:155]
	ds_write2_b64 v151, v[128:129], v[154:155] offset0:16 offset1:20
	v_pk_fma_f32 v[128:129], v[2:3], s[18:19], v[62:63]
	v_pk_fma_f32 v[154:155], v[18:19], s[24:25], v[66:67]
	v_mov_b32_e32 v65, v129
	v_pk_add_f32 v[64:65], v[0:1], v[64:65]
	v_mov_b32_e32 v87, v155
	v_pk_add_f32 v[64:65], v[86:87], v[64:65]
	v_pk_fma_f32 v[86:87], v[92:93], s[16:17], v[88:89] neg_lo:[1,0,0] neg_hi:[1,0,0]
	v_pk_fma_f32 v[92:93], v[16:17], s[16:17], v[88:89]
	v_pk_fma_f32 v[62:63], v[2:3], s[18:19], v[62:63] neg_lo:[0,0,1] neg_hi:[0,0,1]
	v_mov_b32_e32 v87, v93
	v_pk_add_f32 v[64:65], v[86:87], v[64:65]
	v_pk_fma_f32 v[86:87], v[8:9], s[42:43], v[68:69] neg_lo:[1,0,0] neg_hi:[1,0,0]
	v_pk_fma_f32 v[176:177], v[8:9], s[42:43], v[68:69]
	v_mov_b32_e32 v129, v63
	v_pk_fma_f32 v[66:67], v[18:19], s[24:25], v[66:67] neg_lo:[0,0,1] neg_hi:[0,0,1]
	v_mov_b32_e32 v87, v177
	v_pk_add_f32 v[62:63], v[0:1], v[128:129]
	v_mov_b32_e32 v155, v67
	v_pk_fma_f32 v[66:67], v[16:17], s[16:17], v[88:89] neg_lo:[0,0,1] neg_hi:[0,0,1]
	v_pk_add_f32 v[64:65], v[86:87], v[64:65]
	v_pk_fma_f32 v[86:87], v[10:11], s[14:15], v[70:71] neg_lo:[1,0,0] neg_hi:[1,0,0]
	v_pk_add_f32 v[62:63], v[154:155], v[62:63]
	v_mov_b32_e32 v93, v67
	v_pk_fma_f32 v[66:67], v[8:9], s[42:43], v[68:69] neg_lo:[0,0,1] neg_hi:[0,0,1]
	v_mov_b32_e32 v87, v181
	v_pk_add_f32 v[62:63], v[92:93], v[62:63]
	v_mov_b32_e32 v177, v67
	v_pk_fma_f32 v[66:67], v[10:11], s[14:15], v[70:71] neg_lo:[0,0,1] neg_hi:[0,0,1]
	v_pk_add_f32 v[64:65], v[86:87], v[64:65]
	v_pk_fma_f32 v[86:87], v[4:5], s[22:23], v[84:85] neg_lo:[1,0,0] neg_hi:[1,0,0]
	v_pk_add_f32 v[62:63], v[176:177], v[62:63]
	v_mov_b32_e32 v181, v67
	v_pk_fma_f32 v[66:67], v[4:5], s[22:23], v[84:85] neg_lo:[0,0,1] neg_hi:[0,0,1]
	v_mov_b32_e32 v87, v183
	v_pk_add_f32 v[62:63], v[180:181], v[62:63]
	v_mov_b32_e32 v183, v67
	v_pk_add_f32 v[64:65], v[86:87], v[64:65]
	v_pk_add_f32 v[62:63], v[182:183], v[62:63]
	ds_write2_b64 v151, v[64:65], v[62:63] offset0:24 offset1:28
	v_pk_fma_f32 v[64:65], v[18:19], s[22:23], v[158:159] neg_lo:[0,0,1] neg_hi:[0,0,1]
	v_pk_fma_f32 v[62:63], v[2:3], s[16:17], v[132:133] neg_lo:[0,0,1] neg_hi:[0,0,1]
	v_mov_b32_e32 v163, v65
	v_pk_fma_f32 v[64:65], v[16:17], s[10:11], v[160:161] neg_lo:[0,0,1] neg_hi:[0,0,1]
	v_mov_b32_e32 v157, v63
	v_mov_b32_e32 v167, v65
	v_pk_fma_f32 v[64:65], v[8:9], s[40:41], v[164:165] neg_lo:[0,0,1] neg_hi:[0,0,1]
	v_pk_fma_f32 v[66:67], v[18:19], s[20:21], v[96:97] neg_lo:[0,0,1] neg_hi:[0,0,1]
	v_mov_b32_e32 v171, v65
	v_pk_fma_f32 v[64:65], v[10:11], s[24:25], v[168:169] neg_lo:[0,0,1] neg_hi:[0,0,1]
	v_pk_add_f32 v[62:63], v[0:1], v[156:157]
	v_mov_b32_e32 v175, v65
	v_pk_fma_f32 v[64:65], v[4:5], s[14:15], v[172:173] neg_lo:[0,0,1] neg_hi:[0,0,1]
	v_mov_b32_e32 v135, v67
	v_mov_b32_e32 v179, v65
	v_pk_fma_f32 v[64:65], v[2:3], s[14:15], v[90:91] neg_lo:[0,0,1] neg_hi:[0,0,1]
	v_pk_fma_f32 v[66:67], v[16:17], s[24:25], v[118:119] neg_lo:[0,0,1] neg_hi:[0,0,1]
	v_mov_b32_e32 v131, v65
	v_pk_add_f32 v[64:65], v[0:1], v[130:131]
	v_pk_add_f32 v[62:63], v[162:163], v[62:63]
	;; [unrolled: 1-line block ×3, first 2 shown]
	v_mov_b32_e32 v137, v67
	v_pk_fma_f32 v[66:67], v[8:9], s[12:13], v[122:123] neg_lo:[0,0,1] neg_hi:[0,0,1]
	v_pk_add_f32 v[62:63], v[166:167], v[62:63]
	v_pk_add_f32 v[64:65], v[136:137], v[64:65]
	v_mov_b32_e32 v139, v67
	v_pk_fma_f32 v[66:67], v[10:11], s[40:41], v[124:125] neg_lo:[0,0,1] neg_hi:[0,0,1]
	v_pk_add_f32 v[62:63], v[170:171], v[62:63]
	v_pk_add_f32 v[64:65], v[138:139], v[64:65]
	;; [unrolled: 4-line block ×3, first 2 shown]
	v_mov_b32_e32 v153, v67
	v_pk_add_f32 v[62:63], v[178:179], v[62:63]
	v_pk_add_f32 v[64:65], v[152:153], v[64:65]
	ds_write2_b64 v151, v[62:63], v[64:65] offset0:32 offset1:36
	v_pk_fma_f32 v[62:63], v[2:3], s[12:13], v[94:95] neg_lo:[0,0,1] neg_hi:[0,0,1]
	v_pk_fma_f32 v[2:3], v[2:3], s[4:5], v[6:7] neg_lo:[0,0,1] neg_hi:[0,0,1]
	v_mov_b32_e32 v99, v63
	v_pk_fma_f32 v[64:65], v[18:19], s[18:19], v[100:101] neg_lo:[0,0,1] neg_hi:[0,0,1]
	v_mov_b32_e32 v13, v3
	v_pk_fma_f32 v[2:3], v[18:19], s[10:11], v[14:15] neg_lo:[0,0,1] neg_hi:[0,0,1]
	v_pk_add_f32 v[62:63], v[0:1], v[98:99]
	v_mov_b32_e32 v105, v65
	v_pk_fma_f32 v[64:65], v[16:17], s[30:31], v[102:103] neg_lo:[0,0,1] neg_hi:[0,0,1]
	v_pk_add_f32 v[0:1], v[0:1], v[12:13]
	;; [unrolled: 3-line block ×10, first 2 shown]
	v_mov_b32_e32 v121, v65
	v_pk_add_f32 v[38:39], v[54:55], v[38:39]
	v_mov_b32_e32 v59, v41
	v_pk_add_f32 v[0:1], v[32:33], v[0:1]
	;; [unrolled: 2-line block ×3, first 2 shown]
	v_pk_add_f32 v[38:39], v[58:59], v[38:39]
	v_pk_add_f32 v[0:1], v[36:37], v[0:1]
	ds_write2_b64 v151, v[62:63], v[38:39] offset0:40 offset1:44
	ds_write_b64 v151, v[0:1] offset:384
.LBB0_23:
	s_or_b64 exec, exec, s[58:59]
	s_movk_i32 s4, 0x4ec5
	v_mul_u32_u24_sdwa v64, v145, s4 dst_sel:DWORD dst_unused:UNUSED_PAD src0_sel:WORD_0 src1_sel:DWORD
	v_lshrrev_b32_e32 v2, 20, v64
	v_mul_lo_u16_e32 v2, 52, v2
	v_sub_u16_e32 v2, v145, v2
	v_mul_u32_u24_sdwa v65, v144, s4 dst_sel:DWORD dst_unused:UNUSED_PAD src0_sel:WORD_0 src1_sel:DWORD
	v_lshlrev_b32_e32 v22, 3, v2
	v_lshrrev_b32_e32 v2, 20, v65
	v_mul_lo_u16_e32 v2, 52, v2
	v_sub_u16_e32 v2, v144, v2
	s_waitcnt lgkmcnt(0)
	; wave barrier
	s_waitcnt lgkmcnt(0)
	v_lshl_add_u64 v[0:1], v[80:81], 3, s[8:9]
	v_lshlrev_b32_e32 v23, 3, v2
	global_load_dwordx2 v[2:3], v22, s[8:9] offset:400
	global_load_dwordx2 v[4:5], v23, s[8:9] offset:400
	global_load_dwordx2 v[20:21], v[0:1], off offset:400
	v_mul_u32_u24_sdwa v6, v150, s4 dst_sel:DWORD dst_unused:UNUSED_PAD src0_sel:WORD_0 src1_sel:DWORD
	v_lshrrev_b32_e32 v6, 20, v6
	v_mul_lo_u16_e32 v6, 52, v6
	v_sub_u16_e32 v6, v150, v6
	v_lshlrev_b32_e32 v48, 3, v6
	v_mul_u32_u24_sdwa v6, v149, s4 dst_sel:DWORD dst_unused:UNUSED_PAD src0_sel:WORD_0 src1_sel:DWORD
	v_lshrrev_b32_e32 v6, 20, v6
	v_mul_lo_u16_e32 v6, 52, v6
	global_load_dwordx2 v[24:25], v48, s[8:9] offset:400
	v_sub_u16_e32 v6, v149, v6
	v_lshlrev_b32_e32 v49, 3, v6
	global_load_dwordx2 v[26:27], v49, s[8:9] offset:400
	v_mul_u32_u24_sdwa v6, v148, s4 dst_sel:DWORD dst_unused:UNUSED_PAD src0_sel:WORD_0 src1_sel:DWORD
	v_lshrrev_b32_e32 v6, 20, v6
	v_mul_lo_u16_e32 v6, 52, v6
	v_sub_u16_e32 v6, v148, v6
	v_lshlrev_b32_e32 v50, 3, v6
	global_load_dwordx2 v[28:29], v50, s[8:9] offset:400
	v_mul_u32_u24_sdwa v6, v147, s4 dst_sel:DWORD dst_unused:UNUSED_PAD src0_sel:WORD_0 src1_sel:DWORD
	v_lshrrev_b32_e32 v6, 20, v6
	v_mul_lo_u16_e32 v6, 52, v6
	;; [unrolled: 6-line block ×3, first 2 shown]
	v_sub_u16_e32 v6, v146, v6
	v_mul_u32_u24_sdwa v67, v143, s4 dst_sel:DWORD dst_unused:UNUSED_PAD src0_sel:WORD_0 src1_sel:DWORD
	v_lshlrev_b32_e32 v39, 3, v6
	global_load_dwordx2 v[32:33], v39, s[8:9] offset:400
	v_lshrrev_b32_e32 v6, 20, v67
	v_mul_lo_u16_e32 v6, 52, v6
	v_sub_u16_e32 v6, v143, v6
	v_lshlrev_b32_e32 v40, 3, v6
	global_load_dwordx2 v[34:35], v40, s[8:9] offset:400
	s_movk_i32 s4, 0x4f
	v_mul_lo_u16_sdwa v6, v83, s4 dst_sel:DWORD dst_unused:UNUSED_PAD src0_sel:BYTE_0 src1_sel:DWORD
	v_lshrrev_b16_e32 v6, 12, v6
	v_mul_lo_u16_sdwa v43, v79, s4 dst_sel:DWORD dst_unused:UNUSED_PAD src0_sel:BYTE_0 src1_sel:DWORD
	v_mul_lo_u16_e32 v6, 52, v6
	v_lshrrev_b16_e32 v43, 12, v43
	v_mov_b32_e32 v41, 3
	v_sub_u16_e32 v6, v83, v6
	v_mul_lo_u16_e32 v43, 52, v43
	v_lshlrev_b32_sdwa v42, v41, v6 dst_sel:DWORD dst_unused:UNUSED_PAD src0_sel:DWORD src1_sel:BYTE_0
	global_load_dwordx2 v[36:37], v42, s[8:9] offset:400
	v_sub_u16_e32 v43, v79, v43
	v_lshlrev_b32_sdwa v41, v41, v43 dst_sel:DWORD dst_unused:UNUSED_PAD src0_sel:DWORD src1_sel:BYTE_0
	v_add_u32_e32 v6, 0x1000, v142
	v_add_u32_e32 v7, 0x1400, v142
	ds_read2_b64 v[8:11], v142 offset1:52
	ds_read2_b64 v[12:15], v6 offset0:112 offset1:164
	ds_read2_b64 v[16:19], v7 offset0:88 offset1:140
	v_add_u32_e32 v80, 0, v39
	v_add_u32_e32 v81, 0, v38
	global_load_dwordx2 v[38:39], v41, s[8:9] offset:400
	v_add_u32_e32 v70, 0, v22
	v_add_u32_e32 v71, 0, v23
	;; [unrolled: 1-line block ×8, first 2 shown]
	s_mov_b32 s4, 0x3f5db3d7
	s_waitcnt vmcnt(8) lgkmcnt(1)
	v_pk_mul_f32 v[22:23], v[20:21], v[12:13] op_sel:[0,1]
	v_pk_mul_f32 v[40:41], v[20:21], v[14:15] op_sel:[0,1]
	v_pk_fma_f32 v[42:43], v[20:21], v[12:13], v[22:23] op_sel:[0,0,1] op_sel_hi:[1,1,0] neg_lo:[0,0,1] neg_hi:[0,0,1]
	v_pk_fma_f32 v[12:13], v[20:21], v[12:13], v[22:23] op_sel:[0,0,1] op_sel_hi:[1,0,0]
	v_pk_fma_f32 v[22:23], v[20:21], v[14:15], v[40:41] op_sel:[0,0,1] op_sel_hi:[1,1,0] neg_lo:[0,0,1] neg_hi:[0,0,1]
	v_pk_fma_f32 v[14:15], v[20:21], v[14:15], v[40:41] op_sel:[0,0,1] op_sel_hi:[1,0,0]
	v_mov_b32_e32 v43, v13
	v_mov_b32_e32 v23, v15
	v_pk_add_f32 v[40:41], v[8:9], v[42:43] neg_lo:[0,1] neg_hi:[0,1]
	v_pk_add_f32 v[42:43], v[10:11], v[22:23] neg_lo:[0,1] neg_hi:[0,1]
	v_pk_fma_f32 v[44:45], v[8:9], 2.0, v[40:41] op_sel_hi:[1,0,1] neg_lo:[0,0,1] neg_hi:[0,0,1]
	v_add_u32_e32 v8, 0x2000, v142
	v_pk_fma_f32 v[46:47], v[10:11], 2.0, v[42:43] op_sel_hi:[1,0,1] neg_lo:[0,0,1] neg_hi:[0,0,1]
	ds_read2_b64 v[10:13], v8 offset0:120 offset1:172
	ds_read2_b64 v[20:23], v6 offset0:8 offset1:60
	v_add_u32_e32 v9, 0x800, v142
	s_waitcnt vmcnt(7) lgkmcnt(1)
	v_pk_mul_f32 v[14:15], v[12:13], v[24:25] op_sel:[0,1]
	s_nop 0
	v_pk_fma_f32 v[48:49], v[12:13], v[24:25], v[14:15] op_sel:[0,0,1] op_sel_hi:[1,1,0] neg_lo:[0,0,1] neg_hi:[0,0,1]
	v_pk_fma_f32 v[12:13], v[12:13], v[24:25], v[14:15] op_sel:[0,0,1] op_sel_hi:[1,0,0]
	s_nop 0
	v_mov_b32_e32 v49, v13
	s_waitcnt vmcnt(6)
	v_pk_mul_f32 v[12:13], v[10:11], v[26:27] op_sel:[0,1]
	s_waitcnt lgkmcnt(0)
	v_pk_add_f32 v[24:25], v[22:23], v[48:49] neg_lo:[0,1] neg_hi:[0,1]
	v_pk_fma_f32 v[14:15], v[10:11], v[26:27], v[12:13] op_sel:[0,0,1] op_sel_hi:[1,1,0] neg_lo:[0,0,1] neg_hi:[0,0,1]
	v_pk_fma_f32 v[10:11], v[10:11], v[26:27], v[12:13] op_sel:[0,0,1] op_sel_hi:[1,0,0]
	v_pk_fma_f32 v[48:49], v[22:23], 2.0, v[24:25] op_sel_hi:[1,0,1] neg_lo:[0,0,1] neg_hi:[0,0,1]
	v_mov_b32_e32 v15, v11
	ds_read2_b64 v[10:13], v8 offset0:16 offset1:68
	v_pk_add_f32 v[26:27], v[20:21], v[14:15] neg_lo:[0,1] neg_hi:[0,1]
	s_waitcnt vmcnt(5) lgkmcnt(0)
	v_pk_mul_f32 v[14:15], v[12:13], v[28:29] op_sel:[0,1]
	v_pk_fma_f32 v[50:51], v[20:21], 2.0, v[26:27] op_sel_hi:[1,0,1] neg_lo:[0,0,1] neg_hi:[0,0,1]
	ds_read2_b64 v[20:23], v9 offset0:160 offset1:212
	v_pk_fma_f32 v[52:53], v[12:13], v[28:29], v[14:15] op_sel:[0,0,1] op_sel_hi:[1,1,0] neg_lo:[0,0,1] neg_hi:[0,0,1]
	v_pk_fma_f32 v[12:13], v[12:13], v[28:29], v[14:15] op_sel:[0,0,1] op_sel_hi:[1,0,0]
	s_nop 0
	v_mov_b32_e32 v53, v13
	s_waitcnt lgkmcnt(0)
	v_pk_add_f32 v[28:29], v[22:23], v[52:53] neg_lo:[0,1] neg_hi:[0,1]
	s_waitcnt vmcnt(4)
	v_pk_mul_f32 v[12:13], v[10:11], v[30:31] op_sel:[0,1]
	v_pk_fma_f32 v[52:53], v[22:23], 2.0, v[28:29] op_sel_hi:[1,0,1] neg_lo:[0,0,1] neg_hi:[0,0,1]
	v_pk_fma_f32 v[22:23], v[10:11], v[30:31], v[12:13] op_sel:[0,0,1] op_sel_hi:[1,1,0] neg_lo:[0,0,1] neg_hi:[0,0,1]
	v_pk_fma_f32 v[10:11], v[10:11], v[30:31], v[12:13] op_sel:[0,0,1] op_sel_hi:[1,0,0]
	s_nop 0
	v_add_u32_e32 v10, 0x1800, v142
	ds_read2_b64 v[12:15], v10 offset0:168 offset1:220
	v_mov_b32_e32 v23, v11
	v_pk_add_f32 v[30:31], v[20:21], v[22:23] neg_lo:[0,1] neg_hi:[0,1]
	v_add_u32_e32 v11, 0x400, v142
	v_pk_fma_f32 v[54:55], v[20:21], 2.0, v[30:31] op_sel_hi:[1,0,1] neg_lo:[0,0,1] neg_hi:[0,0,1]
	ds_read2_b64 v[20:23], v9 offset0:56 offset1:108
	s_waitcnt vmcnt(3) lgkmcnt(1)
	v_pk_mul_f32 v[56:57], v[14:15], v[32:33] op_sel:[0,1]
	s_nop 0
	v_pk_fma_f32 v[58:59], v[14:15], v[32:33], v[56:57] op_sel:[0,0,1] op_sel_hi:[1,1,0] neg_lo:[0,0,1] neg_hi:[0,0,1]
	v_pk_fma_f32 v[14:15], v[14:15], v[32:33], v[56:57] op_sel:[0,0,1] op_sel_hi:[1,0,0]
	s_nop 0
	v_mov_b32_e32 v59, v15
	s_waitcnt lgkmcnt(0)
	v_pk_add_f32 v[32:33], v[22:23], v[58:59] neg_lo:[0,1] neg_hi:[0,1]
	s_waitcnt vmcnt(2)
	v_pk_mul_f32 v[14:15], v[12:13], v[34:35] op_sel:[0,1]
	v_pk_fma_f32 v[56:57], v[22:23], 2.0, v[32:33] op_sel_hi:[1,0,1] neg_lo:[0,0,1] neg_hi:[0,0,1]
	v_pk_fma_f32 v[22:23], v[12:13], v[34:35], v[14:15] op_sel:[0,0,1] op_sel_hi:[1,1,0] neg_lo:[0,0,1] neg_hi:[0,0,1]
	v_pk_fma_f32 v[12:13], v[12:13], v[34:35], v[14:15] op_sel:[0,0,1] op_sel_hi:[1,0,0]
	s_nop 0
	v_mov_b32_e32 v23, v13
	ds_read2_b64 v[12:15], v10 offset0:64 offset1:116
	v_pk_add_f32 v[34:35], v[20:21], v[22:23] neg_lo:[0,1] neg_hi:[0,1]
	s_waitcnt lgkmcnt(0)
	v_pk_mul_f32 v[60:61], v[14:15], v[4:5] op_sel:[0,1]
	v_pk_fma_f32 v[58:59], v[20:21], 2.0, v[34:35] op_sel_hi:[1,0,1] neg_lo:[0,0,1] neg_hi:[0,0,1]
	ds_read2_b64 v[20:23], v11 offset0:80 offset1:132
	v_pk_fma_f32 v[62:63], v[14:15], v[4:5], v[60:61] op_sel:[0,0,1] op_sel_hi:[1,1,0] neg_lo:[0,0,1] neg_hi:[0,0,1]
	v_pk_fma_f32 v[4:5], v[14:15], v[4:5], v[60:61] op_sel:[0,0,1] op_sel_hi:[1,0,0]
	s_nop 0
	v_mov_b32_e32 v63, v5
	v_pk_mul_f32 v[4:5], v[12:13], v[2:3] op_sel:[0,1]
	s_waitcnt lgkmcnt(0)
	v_pk_add_f32 v[14:15], v[22:23], v[62:63] neg_lo:[0,1] neg_hi:[0,1]
	v_pk_fma_f32 v[60:61], v[12:13], v[2:3], v[4:5] op_sel:[0,0,1] op_sel_hi:[1,1,0] neg_lo:[0,0,1] neg_hi:[0,0,1]
	v_pk_fma_f32 v[2:3], v[12:13], v[2:3], v[4:5] op_sel:[0,0,1] op_sel_hi:[1,0,0]
	v_pk_fma_f32 v[22:23], v[22:23], 2.0, v[14:15] op_sel_hi:[1,0,1] neg_lo:[0,0,1] neg_hi:[0,0,1]
	v_mov_b32_e32 v61, v3
	ds_read2_b64 v[2:5], v142 offset0:104 offset1:156
	v_pk_add_f32 v[12:13], v[20:21], v[60:61] neg_lo:[0,1] neg_hi:[0,1]
	s_waitcnt vmcnt(1)
	v_pk_mul_f32 v[60:61], v[18:19], v[36:37] op_sel:[0,1]
	s_waitcnt lgkmcnt(0)
	v_pk_fma_f32 v[62:63], v[18:19], v[36:37], v[60:61] op_sel:[0,0,1] op_sel_hi:[1,1,0] neg_lo:[0,0,1] neg_hi:[0,0,1]
	v_pk_fma_f32 v[18:19], v[18:19], v[36:37], v[60:61] op_sel:[0,0,1] op_sel_hi:[1,0,0]
	s_waitcnt vmcnt(0)
	v_pk_mul_f32 v[36:37], v[38:39], v[16:17] op_sel:[0,1]
	v_mov_b32_e32 v63, v19
	v_pk_fma_f32 v[60:61], v[38:39], v[16:17], v[36:37] op_sel:[0,0,1] op_sel_hi:[1,1,0] neg_lo:[0,0,1] neg_hi:[0,0,1]
	v_pk_fma_f32 v[16:17], v[38:39], v[16:17], v[36:37] op_sel:[0,0,1] op_sel_hi:[1,0,0]
	v_pk_add_f32 v[18:19], v[4:5], v[62:63] neg_lo:[0,1] neg_hi:[0,1]
	v_mov_b32_e32 v61, v17
	v_pk_add_f32 v[16:17], v[2:3], v[60:61] neg_lo:[0,1] neg_hi:[0,1]
	v_add_u32_e32 v36, 0x400, v68
	v_pk_fma_f32 v[2:3], v[2:3], 2.0, v[16:17] op_sel_hi:[1,0,1] neg_lo:[0,0,1] neg_hi:[0,0,1]
	v_pk_fma_f32 v[4:5], v[4:5], 2.0, v[18:19] op_sel_hi:[1,0,1] neg_lo:[0,0,1] neg_hi:[0,0,1]
	; wave barrier
	ds_write2_b64 v142, v[44:45], v[40:41] offset1:52
	ds_write2_b64 v142, v[46:47], v[42:43] offset0:104 offset1:156
	ds_write2_b64 v36, v[2:3], v[16:17] offset0:80 offset1:132
	v_add_u32_e32 v2, 0x800, v69
	v_pk_fma_f32 v[20:21], v[20:21], 2.0, v[12:13] op_sel_hi:[1,0,1] neg_lo:[0,0,1] neg_hi:[0,0,1]
	ds_write2_b64 v2, v[4:5], v[18:19] offset0:56 offset1:108
	v_add_u32_e32 v2, 0x800, v70
	ds_write2_b64 v2, v[20:21], v[12:13] offset0:160 offset1:212
	v_add_u32_e32 v2, 0x1000, v71
	;; [unrolled: 2-line block ×8, first 2 shown]
	v_mov_b32_e32 v79, 0
	ds_write2_b64 v2, v[48:49], v[24:25] offset0:120 offset1:172
	v_lshl_add_u64 v[2:3], v[78:79], 3, s[8:9]
	s_waitcnt lgkmcnt(0)
	; wave barrier
	s_waitcnt lgkmcnt(0)
	global_load_dwordx4 v[2:5], v[2:3], off offset:816
	v_mov_b32_e32 v83, v79
	v_lshl_add_u64 v[12:13], v[82:83], 3, s[8:9]
	global_load_dwordx4 v[12:15], v[12:13], off offset:816
	v_lshrrev_b32_e32 v24, 21, v64
	v_mul_lo_u16_e32 v24, 0x68, v24
	v_sub_u16_e32 v64, v145, v24
	v_lshrrev_b32_e32 v24, 21, v65
	v_mul_lo_u16_e32 v24, 0x68, v24
	v_sub_u16_e32 v65, v144, v24
	;; [unrolled: 3-line block ×3, first 2 shown]
	v_lshrrev_b32_e32 v24, 21, v66
	v_mul_lo_u16_e32 v24, 0x68, v24
	v_lshlrev_b32_e32 v42, 4, v67
	v_sub_u16_e32 v66, v146, v24
	ds_read2_b64 v[16:19], v9 offset0:160 offset1:212
	ds_read2_b64 v[20:23], v10 offset0:64 offset1:116
	v_lshlrev_b32_e32 v40, 4, v64
	v_lshlrev_b32_e32 v41, 4, v65
	;; [unrolled: 1-line block ×3, first 2 shown]
	global_load_dwordx4 v[24:27], v42, s[8:9] offset:816
	global_load_dwordx4 v[28:31], v43, s[8:9] offset:816
	;; [unrolled: 1-line block ×4, first 2 shown]
	ds_read2_b64 v[40:43], v142 offset1:52
	v_lshl_add_u32 v78, v64, 3, 0
	v_lshl_add_u32 v80, v65, 3, 0
	;; [unrolled: 1-line block ×4, first 2 shown]
	s_waitcnt vmcnt(5) lgkmcnt(2)
	v_pk_mul_f32 v[44:45], v[2:3], v[16:17] op_sel:[0,1]
	s_nop 0
	v_pk_fma_f32 v[46:47], v[2:3], v[16:17], v[44:45] op_sel:[0,0,1] op_sel_hi:[1,1,0] neg_lo:[0,0,1] neg_hi:[0,0,1]
	v_pk_fma_f32 v[16:17], v[2:3], v[16:17], v[44:45] op_sel:[0,0,1] op_sel_hi:[1,0,0]
	s_waitcnt vmcnt(4)
	v_mov_b32_e32 v50, v15
	v_mov_b32_e32 v47, v17
	s_waitcnt lgkmcnt(1)
	v_pk_mul_f32 v[16:17], v[4:5], v[20:21] op_sel:[0,1]
	s_nop 0
	v_pk_fma_f32 v[44:45], v[4:5], v[20:21], v[16:17] op_sel:[0,0,1] op_sel_hi:[1,1,0] neg_lo:[0,0,1] neg_hi:[0,0,1]
	v_pk_fma_f32 v[16:17], v[4:5], v[20:21], v[16:17] op_sel:[0,0,1] op_sel_hi:[1,0,0]
	s_nop 0
	v_mov_b32_e32 v45, v17
	s_waitcnt lgkmcnt(0)
	v_pk_add_f32 v[16:17], v[40:41], v[46:47]
	s_nop 0
	v_pk_add_f32 v[48:49], v[16:17], v[44:45]
	v_pk_mul_f32 v[16:17], v[12:13], v[18:19] op_sel:[0,1]
	s_nop 0
	v_pk_fma_f32 v[20:21], v[12:13], v[18:19], v[16:17] op_sel:[0,0,1] op_sel_hi:[1,1,0] neg_lo:[0,0,1] neg_hi:[0,0,1]
	v_pk_fma_f32 v[16:17], v[12:13], v[18:19], v[16:17] op_sel:[0,0,1] op_sel_hi:[1,0,0]
	s_nop 0
	v_mov_b32_e32 v21, v17
	v_pk_mul_f32 v[16:17], v[22:23], v[50:51] op_sel_hi:[1,0]
	s_nop 0
	v_pk_fma_f32 v[18:19], v[22:23], v[14:15], v[16:17] op_sel:[0,0,1] op_sel_hi:[1,1,0] neg_lo:[0,0,1] neg_hi:[0,0,1]
	v_pk_fma_f32 v[16:17], v[22:23], v[14:15], v[16:17] op_sel:[0,0,1] op_sel_hi:[1,0,0]
	v_pk_add_f32 v[22:23], v[46:47], v[44:45] neg_lo:[0,1] neg_hi:[0,1]
	v_mov_b32_e32 v19, v17
	v_pk_add_f32 v[16:17], v[42:43], v[20:21]
	v_pk_mul_f32 v[22:23], v[22:23], s[4:5] op_sel_hi:[1,0]
	v_pk_add_f32 v[52:53], v[16:17], v[18:19]
	v_pk_add_f32 v[16:17], v[46:47], v[44:45]
	s_nop 0
	v_pk_fma_f32 v[16:17], v[16:17], 0.5, v[40:41] op_sel_hi:[1,0,1] neg_lo:[1,0,0] neg_hi:[1,0,0]
	s_nop 0
	v_pk_add_f32 v[44:45], v[16:17], v[22:23] op_sel:[0,1] op_sel_hi:[1,0]
	v_pk_add_f32 v[46:47], v[16:17], v[22:23] op_sel:[0,1] op_sel_hi:[1,0] neg_lo:[0,1] neg_hi:[0,1]
	v_pk_add_f32 v[16:17], v[20:21], v[18:19]
	s_nop 0
	v_pk_fma_f32 v[22:23], v[16:17], 0.5, v[42:43] op_sel_hi:[1,0,1] neg_lo:[1,0,0] neg_hi:[1,0,0]
	v_pk_add_f32 v[16:17], v[20:21], v[18:19] neg_lo:[0,1] neg_hi:[0,1]
	s_nop 0
	v_pk_mul_f32 v[20:21], v[16:17], s[4:5] op_sel_hi:[1,0]
	ds_read2_b64 v[16:19], v6 offset0:8 offset1:60
	v_pk_add_f32 v[54:55], v[22:23], v[20:21] op_sel:[0,1] op_sel_hi:[1,0]
	v_pk_add_f32 v[56:57], v[22:23], v[20:21] op_sel:[0,1] op_sel_hi:[1,0] neg_lo:[0,1] neg_hi:[0,1]
	ds_read2_b64 v[20:23], v142 offset0:104 offset1:156
	ds_read2_b64 v[40:43], v10 offset0:168 offset1:220
	s_waitcnt lgkmcnt(2)
	v_pk_mul_f32 v[58:59], v[16:17], v[2:3] op_sel:[0,1]
	s_nop 0
	v_pk_fma_f32 v[60:61], v[16:17], v[2:3], v[58:59] op_sel:[0,0,1] op_sel_hi:[1,1,0] neg_lo:[0,0,1] neg_hi:[0,0,1]
	v_pk_fma_f32 v[2:3], v[16:17], v[2:3], v[58:59] op_sel:[0,0,1] op_sel_hi:[1,0,0]
	s_nop 0
	v_mov_b32_e32 v2, v5
	v_mov_b32_e32 v61, v3
	s_waitcnt lgkmcnt(0)
	v_pk_mul_f32 v[2:3], v[40:41], v[2:3] op_sel_hi:[1,0]
	s_nop 0
	v_pk_fma_f32 v[16:17], v[40:41], v[4:5], v[2:3] op_sel:[0,0,1] op_sel_hi:[1,1,0] neg_lo:[0,0,1] neg_hi:[0,0,1]
	v_pk_fma_f32 v[2:3], v[40:41], v[4:5], v[2:3] op_sel:[0,0,1] op_sel_hi:[1,0,0]
	s_nop 0
	v_mov_b32_e32 v17, v3
	v_pk_add_f32 v[2:3], v[20:21], v[60:61]
	s_nop 0
	v_pk_add_f32 v[40:41], v[2:3], v[16:17]
	v_pk_mul_f32 v[2:3], v[42:43], v[50:51] op_sel_hi:[1,0]
	s_nop 0
	v_pk_fma_f32 v[4:5], v[42:43], v[14:15], v[2:3] op_sel:[0,0,1] op_sel_hi:[1,1,0] neg_lo:[0,0,1] neg_hi:[0,0,1]
	v_pk_fma_f32 v[2:3], v[42:43], v[14:15], v[2:3] op_sel:[0,0,1] op_sel_hi:[1,0,0]
	s_nop 0
	v_mov_b32_e32 v5, v3
	v_pk_mul_f32 v[2:3], v[18:19], v[12:13] op_sel:[0,1]
	s_nop 0
	v_pk_fma_f32 v[14:15], v[18:19], v[12:13], v[2:3] op_sel:[0,0,1] op_sel_hi:[1,1,0] neg_lo:[0,0,1] neg_hi:[0,0,1]
	v_pk_fma_f32 v[2:3], v[18:19], v[12:13], v[2:3] op_sel:[0,0,1] op_sel_hi:[1,0,0]
	v_pk_add_f32 v[12:13], v[60:61], v[16:17] neg_lo:[0,1] neg_hi:[0,1]
	v_mov_b32_e32 v15, v3
	v_pk_add_f32 v[2:3], v[22:23], v[14:15]
	v_pk_mul_f32 v[12:13], v[12:13], s[4:5] op_sel_hi:[1,0]
	v_pk_add_f32 v[42:43], v[2:3], v[4:5]
	v_pk_add_f32 v[2:3], v[60:61], v[16:17]
	s_nop 0
	v_pk_fma_f32 v[2:3], v[2:3], 0.5, v[20:21] op_sel_hi:[1,0,1] neg_lo:[1,0,0] neg_hi:[1,0,0]
	s_nop 0
	v_pk_add_f32 v[50:51], v[2:3], v[12:13] op_sel:[0,1] op_sel_hi:[1,0]
	v_pk_add_f32 v[58:59], v[2:3], v[12:13] op_sel:[0,1] op_sel_hi:[1,0] neg_lo:[0,1] neg_hi:[0,1]
	v_pk_add_f32 v[2:3], v[14:15], v[4:5]
	v_pk_add_f32 v[4:5], v[14:15], v[4:5] neg_lo:[0,1] neg_hi:[0,1]
	v_pk_fma_f32 v[2:3], v[2:3], 0.5, v[22:23] op_sel_hi:[1,0,1] neg_lo:[1,0,0] neg_hi:[1,0,0]
	v_pk_mul_f32 v[4:5], v[4:5], s[4:5] op_sel_hi:[1,0]
	s_nop 0
	v_pk_add_f32 v[60:61], v[2:3], v[4:5] op_sel:[0,1] op_sel_hi:[1,0]
	v_pk_add_f32 v[62:63], v[2:3], v[4:5] op_sel:[0,1] op_sel_hi:[1,0] neg_lo:[0,1] neg_hi:[0,1]
	ds_read2_b64 v[2:5], v7 offset0:88 offset1:140
	ds_read2_b64 v[12:15], v9 offset0:56 offset1:108
	ds_read2_b64 v[16:19], v8 offset0:120 offset1:172
	s_waitcnt vmcnt(2) lgkmcnt(2)
	v_pk_mul_f32 v[20:21], v[4:5], v[28:29] op_sel:[0,1]
	s_nop 0
	v_pk_fma_f32 v[64:65], v[4:5], v[28:29], v[20:21] op_sel:[0,0,1] op_sel_hi:[1,1,0] neg_lo:[0,0,1] neg_hi:[0,0,1]
	v_pk_fma_f32 v[4:5], v[4:5], v[28:29], v[20:21] op_sel:[0,0,1] op_sel_hi:[1,0,0]
	s_nop 0
	v_mov_b32_e32 v4, v31
	v_mov_b32_e32 v65, v5
	s_waitcnt lgkmcnt(0)
	v_pk_mul_f32 v[4:5], v[18:19], v[4:5] op_sel_hi:[1,0]
	s_nop 0
	v_pk_fma_f32 v[28:29], v[18:19], v[30:31], v[4:5] op_sel:[0,0,1] op_sel_hi:[1,1,0] neg_lo:[0,0,1] neg_hi:[0,0,1]
	v_pk_fma_f32 v[4:5], v[18:19], v[30:31], v[4:5] op_sel:[0,0,1] op_sel_hi:[1,0,0]
	s_nop 0
	v_mov_b32_e32 v29, v5
	v_pk_add_f32 v[4:5], v[14:15], v[64:65]
	s_nop 0
	v_pk_add_f32 v[30:31], v[4:5], v[28:29]
	v_pk_mul_f32 v[4:5], v[2:3], v[24:25] op_sel:[0,1]
	s_nop 0
	v_pk_fma_f32 v[66:67], v[2:3], v[24:25], v[4:5] op_sel:[0,0,1] op_sel_hi:[1,1,0] neg_lo:[0,0,1] neg_hi:[0,0,1]
	v_pk_fma_f32 v[2:3], v[2:3], v[24:25], v[4:5] op_sel:[0,0,1] op_sel_hi:[1,0,0]
	s_nop 0
	v_mov_b32_e32 v2, v27
	v_mov_b32_e32 v67, v3
	v_pk_mul_f32 v[2:3], v[16:17], v[2:3] op_sel_hi:[1,0]
	s_nop 0
	v_pk_fma_f32 v[24:25], v[16:17], v[26:27], v[2:3] op_sel:[0,0,1] op_sel_hi:[1,1,0] neg_lo:[0,0,1] neg_hi:[0,0,1]
	v_pk_fma_f32 v[2:3], v[16:17], v[26:27], v[2:3] op_sel:[0,0,1] op_sel_hi:[1,0,0]
	v_pk_add_f32 v[16:17], v[12:13], v[66:67]
	v_mov_b32_e32 v25, v3
	ds_read2_b64 v[2:5], v6 offset0:112 offset1:164
	v_pk_add_f32 v[26:27], v[16:17], v[24:25]
	ds_read2_b64 v[16:19], v11 offset0:80 offset1:132
	ds_read2_b64 v[20:23], v8 offset0:16 offset1:68
	s_waitcnt lgkmcnt(0)
	; wave barrier
	s_waitcnt vmcnt(0) lgkmcnt(0)
	v_pk_mul_f32 v[68:69], v[4:5], v[36:37] op_sel:[0,1]
	ds_write2_b64 v142, v[48:49], v[52:53] offset1:52
	v_pk_fma_f32 v[70:71], v[4:5], v[36:37], v[68:69] op_sel:[0,0,1] op_sel_hi:[1,1,0] neg_lo:[0,0,1] neg_hi:[0,0,1]
	v_pk_fma_f32 v[4:5], v[4:5], v[36:37], v[68:69] op_sel:[0,0,1] op_sel_hi:[1,0,0]
	ds_write2_b64 v9, v[40:41], v[42:43] offset0:56 offset1:108
	v_mov_b32_e32 v4, v39
	v_mov_b32_e32 v71, v5
	v_pk_mul_f32 v[4:5], v[22:23], v[4:5] op_sel_hi:[1,0]
	s_nop 0
	v_pk_fma_f32 v[36:37], v[22:23], v[38:39], v[4:5] op_sel:[0,0,1] op_sel_hi:[1,1,0] neg_lo:[0,0,1] neg_hi:[0,0,1]
	v_pk_fma_f32 v[4:5], v[22:23], v[38:39], v[4:5] op_sel:[0,0,1] op_sel_hi:[1,0,0]
	v_pk_mul_f32 v[22:23], v[2:3], v[32:33] op_sel:[0,1]
	v_mov_b32_e32 v37, v5
	v_pk_fma_f32 v[38:39], v[2:3], v[32:33], v[22:23] op_sel:[0,0,1] op_sel_hi:[1,1,0] neg_lo:[0,0,1] neg_hi:[0,0,1]
	v_pk_fma_f32 v[2:3], v[2:3], v[32:33], v[22:23] op_sel:[0,0,1] op_sel_hi:[1,0,0]
	v_mov_b32_e32 v32, v54
	v_mov_b32_e32 v2, v35
	;; [unrolled: 1-line block ×3, first 2 shown]
	v_pk_mul_f32 v[2:3], v[20:21], v[2:3] op_sel_hi:[1,0]
	v_mov_b32_e32 v33, v57
	v_pk_fma_f32 v[22:23], v[20:21], v[34:35], v[2:3] op_sel:[0,0,1] op_sel_hi:[1,1,0] neg_lo:[0,0,1] neg_hi:[0,0,1]
	v_pk_fma_f32 v[2:3], v[20:21], v[34:35], v[2:3] op_sel:[0,0,1] op_sel_hi:[1,0,0]
	v_mov_b32_e32 v20, v44
	v_mov_b32_e32 v21, v47
	;; [unrolled: 1-line block ×3, first 2 shown]
	ds_write2_b64 v142, v[20:21], v[32:33] offset0:104 offset1:156
	v_mov_b32_e32 v20, v50
	v_mov_b32_e32 v21, v59
	;; [unrolled: 1-line block ×4, first 2 shown]
	ds_write2_b64 v9, v[20:21], v[32:33] offset0:160 offset1:212
	v_pk_add_f32 v[20:21], v[38:39], v[22:23]
	v_pk_add_f32 v[2:3], v[16:17], v[38:39]
	v_pk_fma_f32 v[16:17], v[20:21], 0.5, v[16:17] op_sel_hi:[1,0,1] neg_lo:[1,0,0] neg_hi:[1,0,0]
	v_pk_add_f32 v[20:21], v[38:39], v[22:23] neg_lo:[0,1] neg_hi:[0,1]
	v_pk_add_f32 v[2:3], v[2:3], v[22:23]
	v_pk_mul_f32 v[20:21], v[20:21], s[4:5] op_sel_hi:[1,0]
	v_mov_b32_e32 v47, v45
	v_pk_add_f32 v[22:23], v[16:17], v[20:21] op_sel:[0,1] op_sel_hi:[1,0]
	v_pk_add_f32 v[16:17], v[16:17], v[20:21] op_sel:[0,1] op_sel_hi:[1,0] neg_lo:[0,1] neg_hi:[0,1]
	v_mov_b32_e32 v57, v55
	v_mov_b32_e32 v59, v51
	;; [unrolled: 1-line block ×5, first 2 shown]
	v_add_u32_e32 v17, 0x1000, v78
	ds_write2_b64 v11, v[46:47], v[56:57] offset0:80 offset1:132
	ds_write2_b64 v6, v[58:59], v[62:63] offset0:8 offset1:60
	;; [unrolled: 1-line block ×3, first 2 shown]
	v_mov_b32_e32 v17, v23
	ds_write_b64 v78, v[16:17] offset:6656
	v_pk_add_f32 v[2:3], v[70:71], v[36:37]
	v_pk_add_f32 v[16:17], v[70:71], v[36:37] neg_lo:[0,1] neg_hi:[0,1]
	v_pk_fma_f32 v[2:3], v[2:3], 0.5, v[18:19] op_sel_hi:[1,0,1] neg_lo:[1,0,0] neg_hi:[1,0,0]
	v_pk_mul_f32 v[16:17], v[16:17], s[4:5] op_sel_hi:[1,0]
	v_pk_add_f32 v[4:5], v[18:19], v[70:71]
	v_pk_add_f32 v[18:19], v[2:3], v[16:17] op_sel:[0,1] op_sel_hi:[1,0]
	v_pk_add_f32 v[2:3], v[2:3], v[16:17] op_sel:[0,1] op_sel_hi:[1,0] neg_lo:[0,1] neg_hi:[0,1]
	v_pk_add_f32 v[4:5], v[4:5], v[36:37]
	v_mov_b32_e32 v16, v18
	v_mov_b32_e32 v17, v3
	v_add_u32_e32 v3, 0x1000, v80
	ds_write2_b64 v3, v[4:5], v[16:17] offset0:112 offset1:216
	v_mov_b32_e32 v3, v19
	ds_write_b64 v80, v[2:3] offset:6656
	v_pk_add_f32 v[2:3], v[66:67], v[24:25]
	v_pk_add_f32 v[4:5], v[66:67], v[24:25] neg_lo:[0,1] neg_hi:[0,1]
	v_pk_fma_f32 v[2:3], v[2:3], 0.5, v[12:13] op_sel_hi:[1,0,1] neg_lo:[1,0,0] neg_hi:[1,0,0]
	v_pk_mul_f32 v[4:5], v[4:5], s[4:5] op_sel_hi:[1,0]
	v_lshl_add_u64 v[22:23], v[74:75], 3, s[8:9]
	v_pk_add_f32 v[12:13], v[2:3], v[4:5] op_sel:[0,1] op_sel_hi:[1,0]
	v_pk_add_f32 v[2:3], v[2:3], v[4:5] op_sel:[0,1] op_sel_hi:[1,0] neg_lo:[0,1] neg_hi:[0,1]
	v_mov_b32_e32 v4, v12
	v_mov_b32_e32 v5, v3
	v_add_u32_e32 v3, 0x1c00, v81
	ds_write2_b64 v3, v[26:27], v[4:5] offset0:40 offset1:144
	v_mov_b32_e32 v3, v13
	ds_write_b64 v81, v[2:3] offset:9152
	v_pk_add_f32 v[2:3], v[64:65], v[28:29]
	v_pk_add_f32 v[4:5], v[64:65], v[28:29] neg_lo:[0,1] neg_hi:[0,1]
	v_pk_fma_f32 v[2:3], v[2:3], 0.5, v[14:15] op_sel_hi:[1,0,1] neg_lo:[1,0,0] neg_hi:[1,0,0]
	v_pk_mul_f32 v[4:5], v[4:5], s[4:5] op_sel_hi:[1,0]
	s_movk_i32 s4, 0x1000
	v_pk_add_f32 v[12:13], v[2:3], v[4:5] op_sel:[0,1] op_sel_hi:[1,0]
	v_pk_add_f32 v[2:3], v[2:3], v[4:5] op_sel:[0,1] op_sel_hi:[1,0] neg_lo:[0,1] neg_hi:[0,1]
	v_mov_b32_e32 v4, v12
	v_mov_b32_e32 v5, v3
	v_add_u32_e32 v3, 0x1c00, v82
	ds_write2_b64 v3, v[30:31], v[4:5] offset0:40 offset1:144
	v_mov_b32_e32 v3, v13
	ds_write_b64 v82, v[2:3] offset:9152
	s_waitcnt lgkmcnt(0)
	; wave barrier
	s_waitcnt lgkmcnt(0)
	global_load_dwordx2 v[20:21], v[0:1], off offset:2480
	global_load_dwordx2 v[24:25], v[22:23], off offset:2896
	global_load_dwordx2 v[26:27], v[22:23], off offset:3312
	global_load_dwordx2 v[28:29], v[22:23], off offset:3728
	v_add_co_u32_e32 v30, vcc, s4, v22
	s_nop 1
	v_addc_co_u32_e32 v31, vcc, 0, v23, vcc
	global_load_dwordx2 v[32:33], v[30:31], off offset:48
	global_load_dwordx2 v[34:35], v[30:31], off offset:464
	ds_read2_b64 v[2:5], v6 offset0:112 offset1:164
	ds_read2_b64 v[12:15], v7 offset0:88 offset1:140
	ds_read2_b64 v[16:19], v142 offset1:52
	v_add_co_u32_e32 v0, vcc, s4, v0
	s_movk_i32 s4, 0x2000
	s_nop 0
	v_addc_co_u32_e32 v1, vcc, 0, v1, vcc
	s_waitcnt vmcnt(5) lgkmcnt(2)
	v_pk_mul_f32 v[36:37], v[20:21], v[2:3] op_sel:[0,1]
	s_nop 0
	v_pk_fma_f32 v[38:39], v[20:21], v[2:3], v[36:37] op_sel:[0,0,1] op_sel_hi:[1,1,0] neg_lo:[0,0,1] neg_hi:[0,0,1]
	v_pk_fma_f32 v[2:3], v[20:21], v[2:3], v[36:37] op_sel:[0,0,1] op_sel_hi:[1,0,0]
	s_waitcnt vmcnt(3) lgkmcnt(1)
	v_pk_mul_f32 v[40:41], v[26:27], v[12:13] op_sel:[0,1]
	v_mov_b32_e32 v39, v3
	v_pk_mul_f32 v[2:3], v[24:25], v[4:5] op_sel:[0,1]
	s_waitcnt lgkmcnt(0)
	v_pk_add_f32 v[36:37], v[16:17], v[38:39] neg_lo:[0,1] neg_hi:[0,1]
	v_pk_fma_f32 v[38:39], v[24:25], v[4:5], v[2:3] op_sel:[0,0,1] op_sel_hi:[1,1,0] neg_lo:[0,0,1] neg_hi:[0,0,1]
	v_pk_fma_f32 v[2:3], v[24:25], v[4:5], v[2:3] op_sel:[0,0,1] op_sel_hi:[1,0,0]
	v_pk_fma_f32 v[42:43], v[26:27], v[12:13], v[40:41] op_sel:[0,0,1] op_sel_hi:[1,1,0] neg_lo:[0,0,1] neg_hi:[0,0,1]
	v_mov_b32_e32 v39, v3
	ds_read2_b64 v[2:5], v142 offset0:104 offset1:156
	v_pk_fma_f32 v[12:13], v[26:27], v[12:13], v[40:41] op_sel:[0,0,1] op_sel_hi:[1,0,0]
	v_pk_add_f32 v[38:39], v[18:19], v[38:39] neg_lo:[0,1] neg_hi:[0,1]
	v_mov_b32_e32 v43, v13
	v_pk_fma_f32 v[16:17], v[16:17], 2.0, v[36:37] op_sel_hi:[1,0,1] neg_lo:[0,0,1] neg_hi:[0,0,1]
	s_waitcnt lgkmcnt(0)
	v_pk_add_f32 v[40:41], v[2:3], v[42:43] neg_lo:[0,1] neg_hi:[0,1]
	v_pk_fma_f32 v[18:19], v[18:19], 2.0, v[38:39] op_sel_hi:[1,0,1] neg_lo:[0,0,1] neg_hi:[0,0,1]
	v_pk_fma_f32 v[42:43], v[2:3], 2.0, v[40:41] op_sel_hi:[1,0,1] neg_lo:[0,0,1] neg_hi:[0,0,1]
	s_waitcnt vmcnt(2)
	v_pk_mul_f32 v[2:3], v[14:15], v[28:29] op_sel:[0,1]
	s_nop 0
	v_pk_fma_f32 v[44:45], v[14:15], v[28:29], v[2:3] op_sel:[0,0,1] op_sel_hi:[1,1,0] neg_lo:[0,0,1] neg_hi:[0,0,1]
	v_pk_fma_f32 v[2:3], v[14:15], v[28:29], v[2:3] op_sel:[0,0,1] op_sel_hi:[1,0,0]
	ds_read2_b64 v[12:15], v10 offset0:64 offset1:116
	v_mov_b32_e32 v45, v3
	v_pk_add_f32 v[44:45], v[4:5], v[44:45] neg_lo:[0,1] neg_hi:[0,1]
	s_waitcnt vmcnt(1) lgkmcnt(0)
	v_pk_mul_f32 v[48:49], v[12:13], v[32:33] op_sel:[0,1]
	v_pk_fma_f32 v[46:47], v[4:5], 2.0, v[44:45] op_sel_hi:[1,0,1] neg_lo:[0,0,1] neg_hi:[0,0,1]
	ds_read2_b64 v[2:5], v11 offset0:80 offset1:132
	v_pk_fma_f32 v[50:51], v[12:13], v[32:33], v[48:49] op_sel:[0,0,1] op_sel_hi:[1,1,0] neg_lo:[0,0,1] neg_hi:[0,0,1]
	v_pk_fma_f32 v[12:13], v[12:13], v[32:33], v[48:49] op_sel:[0,0,1] op_sel_hi:[1,0,0]
	s_nop 0
	v_mov_b32_e32 v51, v13
	s_waitcnt lgkmcnt(0)
	v_pk_add_f32 v[48:49], v[2:3], v[50:51] neg_lo:[0,1] neg_hi:[0,1]
	s_nop 0
	v_pk_fma_f32 v[50:51], v[2:3], 2.0, v[48:49] op_sel_hi:[1,0,1] neg_lo:[0,0,1] neg_hi:[0,0,1]
	s_waitcnt vmcnt(0)
	v_pk_mul_f32 v[2:3], v[14:15], v[34:35] op_sel:[0,1]
	s_nop 0
	v_pk_fma_f32 v[52:53], v[14:15], v[34:35], v[2:3] op_sel:[0,0,1] op_sel_hi:[1,1,0] neg_lo:[0,0,1] neg_hi:[0,0,1]
	v_pk_fma_f32 v[2:3], v[14:15], v[34:35], v[2:3] op_sel:[0,0,1] op_sel_hi:[1,0,0]
	ds_read2_b64 v[12:15], v10 offset0:168 offset1:220
	v_mov_b32_e32 v53, v3
	v_pk_add_f32 v[52:53], v[4:5], v[52:53] neg_lo:[0,1] neg_hi:[0,1]
	s_waitcnt lgkmcnt(0)
	v_pk_mul_f32 v[56:57], v[12:13], v[20:21] op_sel:[0,1]
	v_pk_fma_f32 v[54:55], v[4:5], 2.0, v[52:53] op_sel_hi:[1,0,1] neg_lo:[0,0,1] neg_hi:[0,0,1]
	ds_read2_b64 v[2:5], v9 offset0:56 offset1:108
	v_pk_fma_f32 v[58:59], v[12:13], v[20:21], v[56:57] op_sel:[0,0,1] op_sel_hi:[1,1,0] neg_lo:[0,0,1] neg_hi:[0,0,1]
	v_pk_fma_f32 v[12:13], v[12:13], v[20:21], v[56:57] op_sel:[0,0,1] op_sel_hi:[1,0,0]
	s_nop 0
	v_mov_b32_e32 v59, v13
	s_waitcnt lgkmcnt(0)
	v_pk_add_f32 v[20:21], v[2:3], v[58:59] neg_lo:[0,1] neg_hi:[0,1]
	s_nop 0
	v_pk_fma_f32 v[56:57], v[2:3], 2.0, v[20:21] op_sel_hi:[1,0,1] neg_lo:[0,0,1] neg_hi:[0,0,1]
	v_pk_mul_f32 v[2:3], v[14:15], v[24:25] op_sel:[0,1]
	s_nop 0
	v_pk_fma_f32 v[58:59], v[14:15], v[24:25], v[2:3] op_sel:[0,0,1] op_sel_hi:[1,1,0] neg_lo:[0,0,1] neg_hi:[0,0,1]
	v_pk_fma_f32 v[2:3], v[14:15], v[24:25], v[2:3] op_sel:[0,0,1] op_sel_hi:[1,0,0]
	ds_read2_b64 v[12:15], v8 offset0:16 offset1:68
	v_mov_b32_e32 v59, v3
	v_pk_add_f32 v[24:25], v[4:5], v[58:59] neg_lo:[0,1] neg_hi:[0,1]
	s_waitcnt lgkmcnt(0)
	v_pk_mul_f32 v[60:61], v[12:13], v[26:27] op_sel:[0,1]
	v_pk_fma_f32 v[58:59], v[4:5], 2.0, v[24:25] op_sel_hi:[1,0,1] neg_lo:[0,0,1] neg_hi:[0,0,1]
	ds_read2_b64 v[2:5], v9 offset0:160 offset1:212
	v_pk_fma_f32 v[62:63], v[12:13], v[26:27], v[60:61] op_sel:[0,0,1] op_sel_hi:[1,1,0] neg_lo:[0,0,1] neg_hi:[0,0,1]
	v_pk_fma_f32 v[12:13], v[12:13], v[26:27], v[60:61] op_sel:[0,0,1] op_sel_hi:[1,0,0]
	s_nop 0
	v_mov_b32_e32 v63, v13
	s_waitcnt lgkmcnt(0)
	v_pk_add_f32 v[26:27], v[2:3], v[62:63] neg_lo:[0,1] neg_hi:[0,1]
	s_nop 0
	v_pk_fma_f32 v[60:61], v[2:3], 2.0, v[26:27] op_sel_hi:[1,0,1] neg_lo:[0,0,1] neg_hi:[0,0,1]
	v_pk_mul_f32 v[2:3], v[14:15], v[28:29] op_sel:[0,1]
	s_nop 0
	v_pk_fma_f32 v[62:63], v[14:15], v[28:29], v[2:3] op_sel:[0,0,1] op_sel_hi:[1,1,0] neg_lo:[0,0,1] neg_hi:[0,0,1]
	v_pk_fma_f32 v[2:3], v[14:15], v[28:29], v[2:3] op_sel:[0,0,1] op_sel_hi:[1,0,0]
	ds_read2_b64 v[12:15], v8 offset0:120 offset1:172
	v_mov_b32_e32 v63, v3
	v_pk_add_f32 v[28:29], v[4:5], v[62:63] neg_lo:[0,1] neg_hi:[0,1]
	s_waitcnt lgkmcnt(0)
	v_pk_mul_f32 v[64:65], v[12:13], v[32:33] op_sel:[0,1]
	v_pk_fma_f32 v[62:63], v[4:5], 2.0, v[28:29] op_sel_hi:[1,0,1] neg_lo:[0,0,1] neg_hi:[0,0,1]
	ds_read2_b64 v[2:5], v6 offset0:8 offset1:60
	v_pk_fma_f32 v[66:67], v[12:13], v[32:33], v[64:65] op_sel:[0,0,1] op_sel_hi:[1,1,0] neg_lo:[0,0,1] neg_hi:[0,0,1]
	v_pk_fma_f32 v[12:13], v[12:13], v[32:33], v[64:65] op_sel:[0,0,1] op_sel_hi:[1,0,0]
	v_pk_mul_f32 v[32:33], v[14:15], v[34:35] op_sel:[0,1]
	v_mov_b32_e32 v67, v13
	v_pk_fma_f32 v[64:65], v[14:15], v[34:35], v[32:33] op_sel:[0,0,1] op_sel_hi:[1,1,0] neg_lo:[0,0,1] neg_hi:[0,0,1]
	v_pk_fma_f32 v[14:15], v[14:15], v[34:35], v[32:33] op_sel:[0,0,1] op_sel_hi:[1,0,0]
	s_waitcnt lgkmcnt(0)
	v_pk_add_f32 v[12:13], v[2:3], v[66:67] neg_lo:[0,1] neg_hi:[0,1]
	v_mov_b32_e32 v65, v15
	v_pk_add_f32 v[14:15], v[4:5], v[64:65] neg_lo:[0,1] neg_hi:[0,1]
	v_pk_fma_f32 v[2:3], v[2:3], 2.0, v[12:13] op_sel_hi:[1,0,1] neg_lo:[0,0,1] neg_hi:[0,0,1]
	v_pk_fma_f32 v[4:5], v[4:5], 2.0, v[14:15] op_sel_hi:[1,0,1] neg_lo:[0,0,1] neg_hi:[0,0,1]
	s_waitcnt lgkmcnt(0)
	; wave barrier
	ds_write2_b64 v142, v[16:17], v[18:19] offset1:52
	ds_write2_b64 v9, v[36:37], v[38:39] offset0:56 offset1:108
	ds_write2_b64 v142, v[42:43], v[46:47] offset0:104 offset1:156
	;; [unrolled: 1-line block ×11, first 2 shown]
	s_waitcnt lgkmcnt(0)
	; wave barrier
	s_waitcnt lgkmcnt(0)
	global_load_dwordx2 v[4:5], v[0:1], off offset:880
	global_load_dwordx2 v[20:21], v[30:31], off offset:1296
	;; [unrolled: 1-line block ×8, first 2 shown]
	v_add_co_u32_e32 v0, vcc, s4, v22
	s_nop 1
	v_addc_co_u32_e32 v1, vcc, 0, v23, vcc
	global_load_dwordx2 v[22:23], v[0:1], off offset:112
	global_load_dwordx2 v[30:31], v[0:1], off offset:528
	;; [unrolled: 1-line block ×4, first 2 shown]
	ds_read2_b64 v[0:3], v6 offset0:112 offset1:164
	ds_read2_b64 v[12:15], v7 offset0:88 offset1:140
	ds_read2_b64 v[16:19], v142 offset1:52
	s_waitcnt vmcnt(11) lgkmcnt(2)
	v_pk_mul_f32 v[42:43], v[4:5], v[0:1] op_sel:[0,1]
	s_nop 0
	v_pk_fma_f32 v[44:45], v[4:5], v[0:1], v[42:43] op_sel:[0,0,1] op_sel_hi:[1,1,0] neg_lo:[0,0,1] neg_hi:[0,0,1]
	v_pk_fma_f32 v[0:1], v[4:5], v[0:1], v[42:43] op_sel:[0,0,1] op_sel_hi:[1,0,0]
	s_nop 0
	v_mov_b32_e32 v45, v1
	s_waitcnt vmcnt(10)
	v_pk_mul_f32 v[0:1], v[20:21], v[2:3] op_sel:[0,1]
	s_waitcnt lgkmcnt(0)
	v_pk_add_f32 v[4:5], v[16:17], v[44:45] neg_lo:[0,1] neg_hi:[0,1]
	v_pk_fma_f32 v[42:43], v[20:21], v[2:3], v[0:1] op_sel:[0,0,1] op_sel_hi:[1,1,0] neg_lo:[0,0,1] neg_hi:[0,0,1]
	v_pk_fma_f32 v[0:1], v[20:21], v[2:3], v[0:1] op_sel:[0,0,1] op_sel_hi:[1,0,0]
	v_pk_fma_f32 v[16:17], v[16:17], 2.0, v[4:5] op_sel_hi:[1,0,1] neg_lo:[0,0,1] neg_hi:[0,0,1]
	v_mov_b32_e32 v43, v1
	ds_read2_b64 v[0:3], v142 offset0:104 offset1:156
	v_pk_add_f32 v[20:21], v[18:19], v[42:43] neg_lo:[0,1] neg_hi:[0,1]
	s_waitcnt vmcnt(8)
	v_pk_mul_f32 v[42:43], v[26:27], v[12:13] op_sel:[0,1]
	v_pk_fma_f32 v[18:19], v[18:19], 2.0, v[20:21] op_sel_hi:[1,0,1] neg_lo:[0,0,1] neg_hi:[0,0,1]
	v_pk_fma_f32 v[44:45], v[26:27], v[12:13], v[42:43] op_sel:[0,0,1] op_sel_hi:[1,1,0] neg_lo:[0,0,1] neg_hi:[0,0,1]
	v_pk_fma_f32 v[12:13], v[26:27], v[12:13], v[42:43] op_sel:[0,0,1] op_sel_hi:[1,0,0]
	s_nop 0
	v_mov_b32_e32 v45, v13
	s_waitcnt lgkmcnt(0)
	v_pk_add_f32 v[26:27], v[0:1], v[44:45] neg_lo:[0,1] neg_hi:[0,1]
	s_nop 0
	v_pk_fma_f32 v[42:43], v[0:1], 2.0, v[26:27] op_sel_hi:[1,0,1] neg_lo:[0,0,1] neg_hi:[0,0,1]
	s_waitcnt vmcnt(7)
	v_pk_mul_f32 v[0:1], v[14:15], v[28:29] op_sel:[0,1]
	s_nop 0
	v_pk_fma_f32 v[44:45], v[14:15], v[28:29], v[0:1] op_sel:[0,0,1] op_sel_hi:[1,1,0] neg_lo:[0,0,1] neg_hi:[0,0,1]
	v_pk_fma_f32 v[0:1], v[14:15], v[28:29], v[0:1] op_sel:[0,0,1] op_sel_hi:[1,0,0]
	ds_read2_b64 v[12:15], v10 offset0:64 offset1:116
	v_mov_b32_e32 v45, v1
	v_pk_add_f32 v[28:29], v[2:3], v[44:45] neg_lo:[0,1] neg_hi:[0,1]
	s_waitcnt lgkmcnt(0)
	v_pk_mul_f32 v[46:47], v[12:13], v[24:25] op_sel:[0,1]
	v_pk_fma_f32 v[44:45], v[2:3], 2.0, v[28:29] op_sel_hi:[1,0,1] neg_lo:[0,0,1] neg_hi:[0,0,1]
	ds_read2_b64 v[0:3], v11 offset0:80 offset1:132
	v_pk_fma_f32 v[48:49], v[12:13], v[24:25], v[46:47] op_sel:[0,0,1] op_sel_hi:[1,1,0] neg_lo:[0,0,1] neg_hi:[0,0,1]
	v_pk_fma_f32 v[12:13], v[12:13], v[24:25], v[46:47] op_sel:[0,0,1] op_sel_hi:[1,0,0]
	s_nop 0
	v_mov_b32_e32 v49, v13
	s_waitcnt lgkmcnt(0)
	v_pk_add_f32 v[24:25], v[0:1], v[48:49] neg_lo:[0,1] neg_hi:[0,1]
	s_nop 0
	v_pk_fma_f32 v[46:47], v[0:1], 2.0, v[24:25] op_sel_hi:[1,0,1] neg_lo:[0,0,1] neg_hi:[0,0,1]
	s_waitcnt vmcnt(6)
	v_pk_mul_f32 v[0:1], v[14:15], v[32:33] op_sel:[0,1]
	s_nop 0
	v_pk_fma_f32 v[48:49], v[14:15], v[32:33], v[0:1] op_sel:[0,0,1] op_sel_hi:[1,1,0] neg_lo:[0,0,1] neg_hi:[0,0,1]
	v_pk_fma_f32 v[0:1], v[14:15], v[32:33], v[0:1] op_sel:[0,0,1] op_sel_hi:[1,0,0]
	ds_read2_b64 v[12:15], v10 offset0:168 offset1:220
	v_mov_b32_e32 v49, v1
	v_pk_add_f32 v[32:33], v[2:3], v[48:49] neg_lo:[0,1] neg_hi:[0,1]
	s_waitcnt vmcnt(5) lgkmcnt(0)
	v_pk_mul_f32 v[50:51], v[12:13], v[34:35] op_sel:[0,1]
	v_pk_fma_f32 v[48:49], v[2:3], 2.0, v[32:33] op_sel_hi:[1,0,1] neg_lo:[0,0,1] neg_hi:[0,0,1]
	ds_read2_b64 v[0:3], v9 offset0:56 offset1:108
	v_pk_fma_f32 v[52:53], v[12:13], v[34:35], v[50:51] op_sel:[0,0,1] op_sel_hi:[1,1,0] neg_lo:[0,0,1] neg_hi:[0,0,1]
	v_pk_fma_f32 v[12:13], v[12:13], v[34:35], v[50:51] op_sel:[0,0,1] op_sel_hi:[1,0,0]
	s_nop 0
	v_mov_b32_e32 v53, v13
	s_waitcnt lgkmcnt(0)
	v_pk_add_f32 v[34:35], v[0:1], v[52:53] neg_lo:[0,1] neg_hi:[0,1]
	s_nop 0
	v_pk_fma_f32 v[50:51], v[0:1], 2.0, v[34:35] op_sel_hi:[1,0,1] neg_lo:[0,0,1] neg_hi:[0,0,1]
	s_waitcnt vmcnt(4)
	v_pk_mul_f32 v[0:1], v[14:15], v[36:37] op_sel:[0,1]
	s_nop 0
	v_pk_fma_f32 v[52:53], v[14:15], v[36:37], v[0:1] op_sel:[0,0,1] op_sel_hi:[1,1,0] neg_lo:[0,0,1] neg_hi:[0,0,1]
	v_pk_fma_f32 v[0:1], v[14:15], v[36:37], v[0:1] op_sel:[0,0,1] op_sel_hi:[1,0,0]
	ds_read2_b64 v[12:15], v8 offset0:16 offset1:68
	v_mov_b32_e32 v53, v1
	v_pk_add_f32 v[36:37], v[2:3], v[52:53] neg_lo:[0,1] neg_hi:[0,1]
	s_waitcnt vmcnt(3) lgkmcnt(0)
	;; [unrolled: 20-line block ×3, first 2 shown]
	v_pk_mul_f32 v[58:59], v[12:13], v[38:39] op_sel:[0,1]
	v_pk_fma_f32 v[56:57], v[2:3], 2.0, v[30:31] op_sel_hi:[1,0,1] neg_lo:[0,0,1] neg_hi:[0,0,1]
	ds_read2_b64 v[0:3], v6 offset0:8 offset1:60
	v_pk_fma_f32 v[60:61], v[12:13], v[38:39], v[58:59] op_sel:[0,0,1] op_sel_hi:[1,1,0] neg_lo:[0,0,1] neg_hi:[0,0,1]
	v_pk_fma_f32 v[12:13], v[12:13], v[38:39], v[58:59] op_sel:[0,0,1] op_sel_hi:[1,0,0]
	s_waitcnt vmcnt(0)
	v_pk_mul_f32 v[38:39], v[14:15], v[40:41] op_sel:[0,1]
	v_mov_b32_e32 v61, v13
	v_pk_fma_f32 v[58:59], v[14:15], v[40:41], v[38:39] op_sel:[0,0,1] op_sel_hi:[1,1,0] neg_lo:[0,0,1] neg_hi:[0,0,1]
	v_pk_fma_f32 v[14:15], v[14:15], v[40:41], v[38:39] op_sel:[0,0,1] op_sel_hi:[1,0,0]
	s_waitcnt lgkmcnt(0)
	v_pk_add_f32 v[12:13], v[0:1], v[60:61] neg_lo:[0,1] neg_hi:[0,1]
	v_mov_b32_e32 v59, v15
	v_pk_add_f32 v[14:15], v[2:3], v[58:59] neg_lo:[0,1] neg_hi:[0,1]
	v_pk_fma_f32 v[0:1], v[0:1], 2.0, v[12:13] op_sel_hi:[1,0,1] neg_lo:[0,0,1] neg_hi:[0,0,1]
	v_pk_fma_f32 v[2:3], v[2:3], 2.0, v[14:15] op_sel_hi:[1,0,1] neg_lo:[0,0,1] neg_hi:[0,0,1]
	s_waitcnt lgkmcnt(0)
	; wave barrier
	ds_write2_b64 v142, v[16:17], v[18:19] offset1:52
	ds_write2_b64 v6, v[4:5], v[20:21] offset0:112 offset1:164
	ds_write2_b64 v142, v[42:43], v[44:45] offset0:104 offset1:156
	;; [unrolled: 1-line block ×11, first 2 shown]
	s_waitcnt lgkmcnt(0)
	; wave barrier
	s_waitcnt lgkmcnt(0)
	s_and_saveexec_b64 s[4:5], s[0:1]
	s_cbranch_execz .LBB0_25
; %bb.24:
	v_mul_lo_u32 v0, s3, v76
	v_mul_lo_u32 v1, s2, v77
	v_mad_u64_u32 v[4:5], s[0:1], s2, v76, 0
	v_lshl_add_u32 v10, v74, 3, 0
	v_add3_u32 v5, v5, v1, v0
	ds_read2_b64 v[0:3], v10 offset1:52
	v_lshl_add_u64 v[4:5], v[4:5], 3, s[6:7]
	v_mov_b32_e32 v75, v79
	v_lshl_add_u64 v[8:9], v[72:73], 3, v[4:5]
	v_lshl_add_u64 v[4:5], v[74:75], 3, v[8:9]
	s_waitcnt lgkmcnt(0)
	global_store_dwordx2 v[4:5], v[0:1], off
	ds_read2_b64 v[4:7], v10 offset0:104 offset1:156
	v_add_u32_e32 v78, 52, v74
	v_lshl_add_u64 v[0:1], v[78:79], 3, v[8:9]
	v_add_u32_e32 v78, 0x68, v74
	global_store_dwordx2 v[0:1], v[2:3], off
	v_lshl_add_u64 v[0:1], v[78:79], 3, v[8:9]
	s_waitcnt lgkmcnt(0)
	global_store_dwordx2 v[0:1], v[4:5], off
	v_add_u32_e32 v0, 0x400, v10
	ds_read2_b64 v[0:3], v0 offset0:80 offset1:132
	v_add_u32_e32 v78, 0x9c, v74
	v_lshl_add_u64 v[4:5], v[78:79], 3, v[8:9]
	v_add_u32_e32 v78, 0xd0, v74
	global_store_dwordx2 v[4:5], v[6:7], off
	v_lshl_add_u64 v[4:5], v[78:79], 3, v[8:9]
	v_add_u32_e32 v11, 0x800, v10
	s_waitcnt lgkmcnt(0)
	global_store_dwordx2 v[4:5], v[0:1], off
	ds_read2_b64 v[4:7], v11 offset0:56 offset1:108
	v_add_u32_e32 v78, 0x104, v74
	v_lshl_add_u64 v[0:1], v[78:79], 3, v[8:9]
	v_add_u32_e32 v78, 0x138, v74
	global_store_dwordx2 v[0:1], v[2:3], off
	v_lshl_add_u64 v[0:1], v[78:79], 3, v[8:9]
	s_waitcnt lgkmcnt(0)
	global_store_dwordx2 v[0:1], v[4:5], off
	ds_read2_b64 v[0:3], v11 offset0:160 offset1:212
	v_add_u32_e32 v78, 0x16c, v74
	v_lshl_add_u64 v[4:5], v[78:79], 3, v[8:9]
	v_add_u32_e32 v78, 0x1a0, v74
	global_store_dwordx2 v[4:5], v[6:7], off
	v_lshl_add_u64 v[4:5], v[78:79], 3, v[8:9]
	v_add_u32_e32 v11, 0x1000, v10
	s_waitcnt lgkmcnt(0)
	global_store_dwordx2 v[4:5], v[0:1], off
	ds_read2_b64 v[4:7], v11 offset0:8 offset1:60
	v_add_u32_e32 v78, 0x1d4, v74
	v_lshl_add_u64 v[0:1], v[78:79], 3, v[8:9]
	v_add_u32_e32 v78, 0x208, v74
	global_store_dwordx2 v[0:1], v[2:3], off
	v_lshl_add_u64 v[0:1], v[78:79], 3, v[8:9]
	s_waitcnt lgkmcnt(0)
	global_store_dwordx2 v[0:1], v[4:5], off
	ds_read2_b64 v[0:3], v11 offset0:112 offset1:164
	v_add_u32_e32 v78, 0x23c, v74
	v_lshl_add_u64 v[4:5], v[78:79], 3, v[8:9]
	v_add_u32_e32 v78, 0x270, v74
	global_store_dwordx2 v[4:5], v[6:7], off
	v_lshl_add_u64 v[4:5], v[78:79], 3, v[8:9]
	s_waitcnt lgkmcnt(0)
	global_store_dwordx2 v[4:5], v[0:1], off
	v_add_u32_e32 v0, 0x1400, v10
	ds_read2_b64 v[4:7], v0 offset0:88 offset1:140
	v_add_u32_e32 v78, 0x2a4, v74
	v_lshl_add_u64 v[0:1], v[78:79], 3, v[8:9]
	v_add_u32_e32 v78, 0x2d8, v74
	global_store_dwordx2 v[0:1], v[2:3], off
	v_lshl_add_u64 v[0:1], v[78:79], 3, v[8:9]
	v_add_u32_e32 v11, 0x1800, v10
	s_waitcnt lgkmcnt(0)
	global_store_dwordx2 v[0:1], v[4:5], off
	ds_read2_b64 v[0:3], v11 offset0:64 offset1:116
	v_add_u32_e32 v78, 0x30c, v74
	v_lshl_add_u64 v[4:5], v[78:79], 3, v[8:9]
	v_add_u32_e32 v78, 0x340, v74
	global_store_dwordx2 v[4:5], v[6:7], off
	v_lshl_add_u64 v[4:5], v[78:79], 3, v[8:9]
	s_waitcnt lgkmcnt(0)
	global_store_dwordx2 v[4:5], v[0:1], off
	ds_read2_b64 v[4:7], v11 offset0:168 offset1:220
	v_add_u32_e32 v78, 0x374, v74
	v_lshl_add_u64 v[0:1], v[78:79], 3, v[8:9]
	v_add_u32_e32 v78, 0x3a8, v74
	global_store_dwordx2 v[0:1], v[2:3], off
	v_lshl_add_u64 v[0:1], v[78:79], 3, v[8:9]
	v_add_u32_e32 v10, 0x2000, v10
	s_waitcnt lgkmcnt(0)
	global_store_dwordx2 v[0:1], v[4:5], off
	ds_read2_b64 v[0:3], v10 offset0:16 offset1:68
	v_add_u32_e32 v78, 0x3dc, v74
	v_lshl_add_u64 v[4:5], v[78:79], 3, v[8:9]
	v_add_u32_e32 v78, 0x410, v74
	global_store_dwordx2 v[4:5], v[6:7], off
	v_lshl_add_u64 v[4:5], v[78:79], 3, v[8:9]
	s_waitcnt lgkmcnt(0)
	global_store_dwordx2 v[4:5], v[0:1], off
	ds_read2_b64 v[4:7], v10 offset0:120 offset1:172
	v_add_u32_e32 v78, 0x444, v74
	v_lshl_add_u64 v[0:1], v[78:79], 3, v[8:9]
	v_add_u32_e32 v78, 0x478, v74
	global_store_dwordx2 v[0:1], v[2:3], off
	v_lshl_add_u64 v[0:1], v[78:79], 3, v[8:9]
	v_add_u32_e32 v78, 0x4ac, v74
	s_waitcnt lgkmcnt(0)
	global_store_dwordx2 v[0:1], v[4:5], off
	v_lshl_add_u64 v[0:1], v[78:79], 3, v[8:9]
	global_store_dwordx2 v[0:1], v[6:7], off
.LBB0_25:
	s_endpgm
	.section	.rodata,"a",@progbits
	.p2align	6, 0x0
	.amdhsa_kernel fft_rtc_fwd_len1248_factors_2_2_13_2_3_2_2_wgs_52_tpt_52_halfLds_sp_op_CI_CI_unitstride_sbrr_C2R_dirReg
		.amdhsa_group_segment_fixed_size 0
		.amdhsa_private_segment_fixed_size 0
		.amdhsa_kernarg_size 104
		.amdhsa_user_sgpr_count 2
		.amdhsa_user_sgpr_dispatch_ptr 0
		.amdhsa_user_sgpr_queue_ptr 0
		.amdhsa_user_sgpr_kernarg_segment_ptr 1
		.amdhsa_user_sgpr_dispatch_id 0
		.amdhsa_user_sgpr_kernarg_preload_length 0
		.amdhsa_user_sgpr_kernarg_preload_offset 0
		.amdhsa_user_sgpr_private_segment_size 0
		.amdhsa_uses_dynamic_stack 0
		.amdhsa_enable_private_segment 0
		.amdhsa_system_sgpr_workgroup_id_x 1
		.amdhsa_system_sgpr_workgroup_id_y 0
		.amdhsa_system_sgpr_workgroup_id_z 0
		.amdhsa_system_sgpr_workgroup_info 0
		.amdhsa_system_vgpr_workitem_id 0
		.amdhsa_next_free_vgpr 240
		.amdhsa_next_free_sgpr 60
		.amdhsa_accum_offset 240
		.amdhsa_reserve_vcc 1
		.amdhsa_float_round_mode_32 0
		.amdhsa_float_round_mode_16_64 0
		.amdhsa_float_denorm_mode_32 3
		.amdhsa_float_denorm_mode_16_64 3
		.amdhsa_dx10_clamp 1
		.amdhsa_ieee_mode 1
		.amdhsa_fp16_overflow 0
		.amdhsa_tg_split 0
		.amdhsa_exception_fp_ieee_invalid_op 0
		.amdhsa_exception_fp_denorm_src 0
		.amdhsa_exception_fp_ieee_div_zero 0
		.amdhsa_exception_fp_ieee_overflow 0
		.amdhsa_exception_fp_ieee_underflow 0
		.amdhsa_exception_fp_ieee_inexact 0
		.amdhsa_exception_int_div_zero 0
	.end_amdhsa_kernel
	.text
.Lfunc_end0:
	.size	fft_rtc_fwd_len1248_factors_2_2_13_2_3_2_2_wgs_52_tpt_52_halfLds_sp_op_CI_CI_unitstride_sbrr_C2R_dirReg, .Lfunc_end0-fft_rtc_fwd_len1248_factors_2_2_13_2_3_2_2_wgs_52_tpt_52_halfLds_sp_op_CI_CI_unitstride_sbrr_C2R_dirReg
                                        ; -- End function
	.section	.AMDGPU.csdata,"",@progbits
; Kernel info:
; codeLenInByte = 17544
; NumSgprs: 66
; NumVgprs: 240
; NumAgprs: 0
; TotalNumVgprs: 240
; ScratchSize: 0
; MemoryBound: 0
; FloatMode: 240
; IeeeMode: 1
; LDSByteSize: 0 bytes/workgroup (compile time only)
; SGPRBlocks: 8
; VGPRBlocks: 29
; NumSGPRsForWavesPerEU: 66
; NumVGPRsForWavesPerEU: 240
; AccumOffset: 240
; Occupancy: 2
; WaveLimiterHint : 1
; COMPUTE_PGM_RSRC2:SCRATCH_EN: 0
; COMPUTE_PGM_RSRC2:USER_SGPR: 2
; COMPUTE_PGM_RSRC2:TRAP_HANDLER: 0
; COMPUTE_PGM_RSRC2:TGID_X_EN: 1
; COMPUTE_PGM_RSRC2:TGID_Y_EN: 0
; COMPUTE_PGM_RSRC2:TGID_Z_EN: 0
; COMPUTE_PGM_RSRC2:TIDIG_COMP_CNT: 0
; COMPUTE_PGM_RSRC3_GFX90A:ACCUM_OFFSET: 59
; COMPUTE_PGM_RSRC3_GFX90A:TG_SPLIT: 0
	.text
	.p2alignl 6, 3212836864
	.fill 256, 4, 3212836864
	.type	__hip_cuid_a56362b4eb64c597,@object ; @__hip_cuid_a56362b4eb64c597
	.section	.bss,"aw",@nobits
	.globl	__hip_cuid_a56362b4eb64c597
__hip_cuid_a56362b4eb64c597:
	.byte	0                               ; 0x0
	.size	__hip_cuid_a56362b4eb64c597, 1

	.ident	"AMD clang version 19.0.0git (https://github.com/RadeonOpenCompute/llvm-project roc-6.4.0 25133 c7fe45cf4b819c5991fe208aaa96edf142730f1d)"
	.section	".note.GNU-stack","",@progbits
	.addrsig
	.addrsig_sym __hip_cuid_a56362b4eb64c597
	.amdgpu_metadata
---
amdhsa.kernels:
  - .agpr_count:     0
    .args:
      - .actual_access:  read_only
        .address_space:  global
        .offset:         0
        .size:           8
        .value_kind:     global_buffer
      - .offset:         8
        .size:           8
        .value_kind:     by_value
      - .actual_access:  read_only
        .address_space:  global
        .offset:         16
        .size:           8
        .value_kind:     global_buffer
      - .actual_access:  read_only
        .address_space:  global
        .offset:         24
        .size:           8
        .value_kind:     global_buffer
      - .actual_access:  read_only
        .address_space:  global
        .offset:         32
        .size:           8
        .value_kind:     global_buffer
      - .offset:         40
        .size:           8
        .value_kind:     by_value
      - .actual_access:  read_only
        .address_space:  global
        .offset:         48
        .size:           8
        .value_kind:     global_buffer
      - .actual_access:  read_only
        .address_space:  global
        .offset:         56
        .size:           8
        .value_kind:     global_buffer
      - .offset:         64
        .size:           4
        .value_kind:     by_value
      - .actual_access:  read_only
        .address_space:  global
        .offset:         72
        .size:           8
        .value_kind:     global_buffer
      - .actual_access:  read_only
        .address_space:  global
        .offset:         80
        .size:           8
        .value_kind:     global_buffer
      - .actual_access:  read_only
        .address_space:  global
        .offset:         88
        .size:           8
        .value_kind:     global_buffer
      - .actual_access:  write_only
        .address_space:  global
        .offset:         96
        .size:           8
        .value_kind:     global_buffer
    .group_segment_fixed_size: 0
    .kernarg_segment_align: 8
    .kernarg_segment_size: 104
    .language:       OpenCL C
    .language_version:
      - 2
      - 0
    .max_flat_workgroup_size: 52
    .name:           fft_rtc_fwd_len1248_factors_2_2_13_2_3_2_2_wgs_52_tpt_52_halfLds_sp_op_CI_CI_unitstride_sbrr_C2R_dirReg
    .private_segment_fixed_size: 0
    .sgpr_count:     66
    .sgpr_spill_count: 0
    .symbol:         fft_rtc_fwd_len1248_factors_2_2_13_2_3_2_2_wgs_52_tpt_52_halfLds_sp_op_CI_CI_unitstride_sbrr_C2R_dirReg.kd
    .uniform_work_group_size: 1
    .uses_dynamic_stack: false
    .vgpr_count:     240
    .vgpr_spill_count: 0
    .wavefront_size: 64
amdhsa.target:   amdgcn-amd-amdhsa--gfx950
amdhsa.version:
  - 1
  - 2
...

	.end_amdgpu_metadata
